;; amdgpu-corpus repo=ROCm/rocFFT kind=compiled arch=gfx906 opt=O3
	.text
	.amdgcn_target "amdgcn-amd-amdhsa--gfx906"
	.amdhsa_code_object_version 6
	.protected	bluestein_single_back_len2880_dim1_sp_op_CI_CI ; -- Begin function bluestein_single_back_len2880_dim1_sp_op_CI_CI
	.globl	bluestein_single_back_len2880_dim1_sp_op_CI_CI
	.p2align	8
	.type	bluestein_single_back_len2880_dim1_sp_op_CI_CI,@function
bluestein_single_back_len2880_dim1_sp_op_CI_CI: ; @bluestein_single_back_len2880_dim1_sp_op_CI_CI
; %bb.0:
	s_load_dwordx4 s[12:15], s[4:5], 0x28
	s_mov_b64 s[26:27], s[2:3]
	v_mul_u32_u24_e32 v3, 0x2ab, v0
	s_mov_b64 s[24:25], s[0:1]
	v_add_u32_sdwa v1, s6, v3 dst_sel:DWORD dst_unused:UNUSED_PAD src0_sel:DWORD src1_sel:WORD_1
	v_mov_b32_e32 v2, 0
	s_add_u32 s24, s24, s7
	s_waitcnt lgkmcnt(0)
	v_cmp_gt_u64_e32 vcc, s[12:13], v[1:2]
	s_addc_u32 s25, s25, 0
	s_and_saveexec_b64 s[0:1], vcc
	s_cbranch_execz .LBB0_2
; %bb.1:
	s_load_dwordx4 s[8:11], s[4:5], 0x0
	s_load_dwordx4 s[16:19], s[4:5], 0x18
	s_load_dwordx2 s[12:13], s[4:5], 0x38
	s_movk_i32 s21, 0x60
	v_mul_lo_u16_sdwa v2, v3, s21 dst_sel:DWORD dst_unused:UNUSED_PAD src0_sel:WORD_1 src1_sel:DWORD
	v_sub_u16_e32 v180, v0, v2
	s_waitcnt lgkmcnt(0)
	s_load_dwordx4 s[0:3], s[18:19], 0x0
	v_lshlrev_b32_e32 v167, 3, v180
	v_or_b32_e32 v199, 0x480, v180
	v_or_b32_e32 v134, 0x180, v180
	;; [unrolled: 1-line block ×3, first 2 shown]
	s_waitcnt lgkmcnt(0)
	v_mad_u64_u32 v[4:5], s[4:5], s2, v1, 0
	v_or_b32_e32 v33, 0xa80, v180
	v_add_u32_e32 v142, 0x800, v167
	v_mov_b32_e32 v0, v5
	v_mad_u64_u32 v[2:3], s[2:3], s3, v1, v[0:1]
	v_or_b32_e32 v198, 0x300, v180
	v_add_u32_e32 v203, 0x1400, v167
	v_mov_b32_e32 v5, v2
	buffer_store_dword v4, off, s[24:27], 0 offset:200 ; 4-byte Folded Spill
	s_nop 0
	buffer_store_dword v5, off, s[24:27], 0 offset:204 ; 4-byte Folded Spill
	global_load_dwordx2 v[6:7], v167, s[8:9]
	s_load_dwordx4 s[4:7], s[16:17], 0x0
	s_movk_i32 s16, 0x5000
	v_add_u32_e32 v202, 0x1c00, v167
	v_add_u32_e32 v141, 0x3000, v167
	;; [unrolled: 1-line block ×3, first 2 shown]
	s_waitcnt lgkmcnt(0)
	v_mad_u64_u32 v[2:3], s[2:3], s6, v1, 0
	s_mul_hi_u32 s17, s4, 0x900
	s_mul_i32 s18, s4, 0x900
	v_mov_b32_e32 v0, v3
	v_mad_u64_u32 v[0:1], s[2:3], s7, v1, v[0:1]
	s_add_u32 s2, s8, 0x5a00
	s_addc_u32 s3, s9, 0
	v_mov_b32_e32 v3, v0
	v_mad_u64_u32 v[0:1], s[6:7], s4, v180, 0
	s_mul_hi_u32 s19, s4, 0x1200
	s_mul_i32 s20, s4, 0x1200
	v_mad_u64_u32 v[4:5], s[6:7], s5, v180, v[1:2]
	v_lshlrev_b64 v[2:3], 3, v[2:3]
	s_movk_i32 s6, 0x120
	v_mov_b32_e32 v1, v4
	v_add_co_u32_e32 v8, vcc, s14, v2
	v_mov_b32_e32 v2, s15
	v_lshlrev_b64 v[0:1], 3, v[0:1]
	v_addc_co_u32_e32 v9, vcc, v2, v3, vcc
	v_add_co_u32_e32 v0, vcc, v8, v0
	v_addc_co_u32_e32 v1, vcc, v9, v1, vcc
	global_load_dwordx2 v[4:5], v[0:1], off
	v_add_co_u32_e32 v2, vcc, s8, v167
	v_mov_b32_e32 v3, s9
	v_addc_co_u32_e32 v3, vcc, 0, v3, vcc
	v_add_co_u32_e32 v149, vcc, s6, v180
	v_addc_co_u32_e64 v150, s[6:7], 0, 0, vcc
	s_mul_i32 s6, s5, 0x900
	s_add_i32 s17, s17, s6
	v_add_co_u32_e32 v0, vcc, s18, v0
	s_movk_i32 s6, 0x1000
	s_mul_i32 s7, s5, 0x1200
	s_add_i32 s19, s19, s7
	s_movk_i32 s7, 0x2000
	v_add_u32_e32 v140, 0x4800, v167
	v_add_u32_e32 v143, 0x5000, v167
	;; [unrolled: 1-line block ×3, first 2 shown]
	v_mov_b32_e32 v155, s11
	v_add_u32_e32 v148, 0x360, v180
	v_add_u32_e32 v152, 0x3c0, v180
	;; [unrolled: 1-line block ×4, first 2 shown]
	s_waitcnt vmcnt(1)
	buffer_store_dword v6, off, s[24:27], 0 offset:256 ; 4-byte Folded Spill
	s_nop 0
	buffer_store_dword v7, off, s[24:27], 0 offset:260 ; 4-byte Folded Spill
	s_waitcnt vmcnt(2)
	v_mul_f32_e32 v10, v5, v7
	v_fmac_f32_e32 v10, v4, v6
	v_mul_f32_e32 v4, v4, v7
	v_fma_f32 v11, v5, v6, -v4
	v_mov_b32_e32 v4, s17
	v_addc_co_u32_e32 v1, vcc, v1, v4, vcc
	global_load_dwordx2 v[4:5], v[0:1], off
	global_load_dwordx2 v[12:13], v167, s[8:9] offset:2304
	v_add_co_u32_e32 v0, vcc, s18, v0
	s_waitcnt vmcnt(0)
	buffer_store_dword v12, off, s[24:27], 0 offset:240 ; 4-byte Folded Spill
	s_nop 0
	buffer_store_dword v13, off, s[24:27], 0 offset:244 ; 4-byte Folded Spill
	v_mul_f32_e32 v6, v5, v13
	v_fmac_f32_e32 v6, v4, v12
	v_mul_f32_e32 v4, v4, v13
	v_fma_f32 v7, v5, v12, -v4
	v_mov_b32_e32 v4, s17
	v_addc_co_u32_e32 v1, vcc, v1, v4, vcc
	v_add_co_u32_e32 v12, vcc, s6, v2
	v_addc_co_u32_e32 v13, vcc, 0, v3, vcc
	global_load_dwordx2 v[14:15], v[12:13], off offset:512
	global_load_dwordx2 v[4:5], v[0:1], off
	ds_write_b64 v167, v[6:7] offset:2304
	v_add_co_u32_e32 v0, vcc, s18, v0
                                        ; kill: killed $vgpr12 killed $vgpr13
	s_waitcnt vmcnt(1)
	buffer_store_dword v14, off, s[24:27], 0 offset:232 ; 4-byte Folded Spill
	s_nop 0
	buffer_store_dword v15, off, s[24:27], 0 offset:236 ; 4-byte Folded Spill
	s_waitcnt vmcnt(2)
	v_mul_f32_e32 v6, v5, v15
	v_fmac_f32_e32 v6, v4, v14
	v_mul_f32_e32 v4, v4, v15
	v_fma_f32 v7, v5, v14, -v4
	v_mov_b32_e32 v4, s17
	ds_write_b64 v167, v[6:7] offset:4608
	v_addc_co_u32_e32 v1, vcc, v1, v4, vcc
	global_load_dwordx2 v[4:5], v[0:1], off
	global_load_dwordx2 v[14:15], v[12:13], off offset:2816
	s_waitcnt vmcnt(0)
	buffer_store_dword v14, off, s[24:27], 0 offset:216 ; 4-byte Folded Spill
	s_nop 0
	buffer_store_dword v15, off, s[24:27], 0 offset:220 ; 4-byte Folded Spill
	v_mul_f32_e32 v6, v5, v15
	v_fmac_f32_e32 v6, v4, v14
	v_mul_f32_e32 v4, v4, v15
	v_fma_f32 v7, v5, v14, -v4
	v_mad_u64_u32 v[4:5], s[14:15], s4, v199, 0
	ds_write_b64 v167, v[6:7] offset:6912
	v_mad_u64_u32 v[5:6], s[14:15], s5, v199, v[5:6]
	v_lshlrev_b32_e32 v6, 3, v199
	global_load_dwordx2 v[14:15], v6, s[8:9]
	v_lshlrev_b64 v[4:5], 3, v[4:5]
	buffer_store_dword v6, off, s[24:27], 0 offset:468 ; 4-byte Folded Spill
	v_add_co_u32_e32 v4, vcc, v8, v4
	v_addc_co_u32_e32 v5, vcc, v9, v5, vcc
	global_load_dwordx2 v[4:5], v[4:5], off
	v_add_co_u32_e32 v0, vcc, s20, v0
	s_movk_i32 s14, 0x3000
	s_mul_i32 s15, s5, 0xffffb200
	s_sub_i32 s15, s15, s4
	s_waitcnt vmcnt(2)
	buffer_store_dword v14, off, s[24:27], 0 offset:224 ; 4-byte Folded Spill
	s_nop 0
	buffer_store_dword v15, off, s[24:27], 0 offset:228 ; 4-byte Folded Spill
	s_waitcnt vmcnt(2)
	v_mul_f32_e32 v6, v5, v15
	v_fmac_f32_e32 v6, v4, v14
	v_mul_f32_e32 v4, v4, v15
	v_fma_f32 v7, v5, v14, -v4
	v_mov_b32_e32 v4, s19
	v_addc_co_u32_e32 v1, vcc, v1, v4, vcc
	v_add_co_u32_e32 v4, vcc, s7, v2
	v_addc_co_u32_e32 v5, vcc, 0, v3, vcc
	global_load_dwordx2 v[15:16], v[4:5], off offset:3328
	ds_write_b64 v167, v[6:7] offset:9216
	global_load_dwordx2 v[6:7], v[0:1], off
	v_add_co_u32_e32 v0, vcc, s18, v0
                                        ; kill: killed $vgpr4 killed $vgpr5
	s_waitcnt vmcnt(1)
	buffer_store_dword v15, off, s[24:27], 0 offset:208 ; 4-byte Folded Spill
	s_nop 0
	buffer_store_dword v16, off, s[24:27], 0 offset:212 ; 4-byte Folded Spill
	s_waitcnt vmcnt(2)
	v_mul_f32_e32 v14, v7, v16
	v_fmac_f32_e32 v14, v6, v15
	v_mul_f32_e32 v6, v6, v16
	v_fma_f32 v15, v7, v15, -v6
	v_mov_b32_e32 v6, s17
	v_addc_co_u32_e32 v1, vcc, v1, v6, vcc
	v_add_co_u32_e32 v6, vcc, s14, v2
	v_addc_co_u32_e32 v7, vcc, 0, v3, vcc
	global_load_dwordx2 v[17:18], v[6:7], off offset:1536
	ds_write_b64 v167, v[14:15] offset:11520
	global_load_dwordx2 v[14:15], v[0:1], off
	v_add_co_u32_e32 v0, vcc, s18, v0
                                        ; kill: killed $vgpr6 killed $vgpr7
	s_waitcnt vmcnt(1)
	buffer_store_dword v17, off, s[24:27], 0 offset:192 ; 4-byte Folded Spill
	s_nop 0
	buffer_store_dword v18, off, s[24:27], 0 offset:196 ; 4-byte Folded Spill
	s_waitcnt vmcnt(2)
	v_mul_f32_e32 v16, v15, v18
	v_fmac_f32_e32 v16, v14, v17
	v_mul_f32_e32 v14, v14, v18
	v_fma_f32 v17, v15, v17, -v14
	v_mov_b32_e32 v14, s17
	ds_write_b64 v167, v[16:17] offset:13824
	v_addc_co_u32_e32 v1, vcc, v1, v14, vcc
	global_load_dwordx2 v[14:15], v[0:1], off
	global_load_dwordx2 v[17:18], v[6:7], off offset:3840
	s_waitcnt vmcnt(0)
	buffer_store_dword v17, off, s[24:27], 0 offset:176 ; 4-byte Folded Spill
	s_nop 0
	buffer_store_dword v18, off, s[24:27], 0 offset:180 ; 4-byte Folded Spill
	v_mul_f32_e32 v16, v15, v18
	v_fmac_f32_e32 v16, v14, v17
	v_mul_f32_e32 v14, v14, v18
	v_fma_f32 v17, v15, v17, -v14
	ds_write_b64 v167, v[16:17] offset:16128
	v_or_b32_e32 v17, 0x900, v180
	v_mad_u64_u32 v[14:15], s[22:23], s4, v17, 0
	buffer_store_dword v17, off, s[24:27], 0 offset:172 ; 4-byte Folded Spill
	v_mad_u64_u32 v[15:16], s[22:23], s5, v17, v[15:16]
	v_lshlrev_b32_e32 v16, 3, v17
	global_load_dwordx2 v[17:18], v16, s[8:9]
	v_lshlrev_b64 v[14:15], 3, v[14:15]
	buffer_store_dword v16, off, s[24:27], 0 offset:472 ; 4-byte Folded Spill
	v_add_co_u32_e32 v14, vcc, v8, v14
	v_addc_co_u32_e32 v15, vcc, v9, v15, vcc
	global_load_dwordx2 v[14:15], v[14:15], off
	s_waitcnt vmcnt(2)
	buffer_store_dword v17, off, s[24:27], 0 offset:184 ; 4-byte Folded Spill
	s_nop 0
	buffer_store_dword v18, off, s[24:27], 0 offset:188 ; 4-byte Folded Spill
	s_waitcnt vmcnt(2)
	v_mul_f32_e32 v16, v15, v18
	v_fmac_f32_e32 v16, v14, v17
	v_mul_f32_e32 v14, v14, v18
	v_fma_f32 v17, v15, v17, -v14
	v_add_co_u32_e32 v14, vcc, s20, v0
	v_mov_b32_e32 v0, s19
	v_addc_co_u32_e32 v15, vcc, v1, v0, vcc
	v_add_co_u32_e32 v0, vcc, s16, v2
	v_addc_co_u32_e32 v1, vcc, 0, v3, vcc
	global_load_dwordx2 v[19:20], v[0:1], off offset:256
	ds_write_b64 v167, v[16:17] offset:18432
	global_load_dwordx2 v[16:17], v[14:15], off
	v_add_co_u32_e32 v32, vcc, s21, v180
	s_movk_i32 s21, 0xc0
                                        ; kill: killed $vgpr0 killed $vgpr1
	s_waitcnt vmcnt(1)
	buffer_store_dword v19, off, s[24:27], 0 offset:164 ; 4-byte Folded Spill
	s_nop 0
	buffer_store_dword v20, off, s[24:27], 0 offset:168 ; 4-byte Folded Spill
	s_waitcnt vmcnt(2)
	v_mul_f32_e32 v18, v17, v20
	v_fmac_f32_e32 v18, v16, v19
	v_mul_f32_e32 v16, v16, v20
	v_fma_f32 v19, v17, v19, -v16
	v_mov_b32_e32 v16, 0xffffb200
	v_mad_u64_u32 v[14:15], s[22:23], s4, v16, v[14:15]
	ds_write_b64 v167, v[18:19] offset:20736
	v_add_u32_e32 v15, s15, v15
	global_load_dwordx2 v[16:17], v[14:15], off
	global_load_dwordx2 v[19:20], v167, s[8:9] offset:768
	s_movk_i32 s15, 0x2a0
	s_waitcnt vmcnt(0)
	buffer_store_dword v19, off, s[24:27], 0 offset:148 ; 4-byte Folded Spill
	s_nop 0
	buffer_store_dword v20, off, s[24:27], 0 offset:152 ; 4-byte Folded Spill
	v_mul_f32_e32 v18, v17, v20
	v_fmac_f32_e32 v18, v16, v19
	v_mul_f32_e32 v16, v16, v20
	v_fma_f32 v19, v17, v19, -v16
	ds_write2_b64 v167, v[10:11], v[18:19] offset1:96
	v_mad_u64_u32 v[10:11], s[22:23], s4, v134, 0
	v_mad_u64_u32 v[16:17], s[22:23], s5, v134, v[11:12]
	v_mov_b32_e32 v11, v16
	v_lshlrev_b64 v[10:11], 3, v[10:11]
	v_add_co_u32_e32 v10, vcc, v8, v10
	v_addc_co_u32_e32 v11, vcc, v9, v11, vcc
	global_load_dwordx2 v[16:17], v[10:11], off
	global_load_dwordx2 v[18:19], v167, s[8:9] offset:3072
                                        ; kill: killed $vgpr10 killed $vgpr11
	v_add_co_u32_e32 v146, vcc, s15, v180
	v_addc_co_u32_e64 v147, s[22:23], 0, 0, vcc
	v_add_co_u32_e32 v14, vcc, s20, v14
	s_movk_i32 s15, 0x4000
	s_waitcnt vmcnt(0)
	buffer_store_dword v18, off, s[24:27], 0 offset:156 ; 4-byte Folded Spill
	s_nop 0
	buffer_store_dword v19, off, s[24:27], 0 offset:160 ; 4-byte Folded Spill
	v_mul_f32_e32 v10, v17, v19
	v_fmac_f32_e32 v10, v16, v18
	v_mul_f32_e32 v11, v16, v19
	v_mov_b32_e32 v16, s19
	v_addc_co_u32_e32 v15, vcc, v15, v16, vcc
	v_fma_f32 v11, v17, v18, -v11
	global_load_dwordx2 v[16:17], v[14:15], off
	global_load_dwordx2 v[19:20], v[12:13], off offset:1280
	v_add_co_u32_e32 v14, vcc, s18, v14
	s_waitcnt vmcnt(0)
	buffer_store_dword v19, off, s[24:27], 0 offset:140 ; 4-byte Folded Spill
	s_nop 0
	buffer_store_dword v20, off, s[24:27], 0 offset:144 ; 4-byte Folded Spill
	v_mul_f32_e32 v18, v17, v20
	v_fmac_f32_e32 v18, v16, v19
	v_mul_f32_e32 v16, v16, v20
	v_fma_f32 v19, v17, v19, -v16
	v_mov_b32_e32 v16, s17
	v_addc_co_u32_e32 v15, vcc, v15, v16, vcc
	global_load_dwordx2 v[16:17], v[14:15], off
	global_load_dwordx2 v[20:21], v[12:13], off offset:3584
	v_add_co_u32_e32 v14, vcc, s18, v14
	s_waitcnt vmcnt(0)
	buffer_store_dword v20, off, s[24:27], 0 offset:124 ; 4-byte Folded Spill
	s_nop 0
	buffer_store_dword v21, off, s[24:27], 0 offset:128 ; 4-byte Folded Spill
	v_mul_f32_e32 v12, v17, v21
	v_fmac_f32_e32 v12, v16, v20
	v_mul_f32_e32 v13, v16, v21
	v_mov_b32_e32 v16, s17
	v_addc_co_u32_e32 v15, vcc, v15, v16, vcc
	v_fma_f32 v13, v17, v20, -v13
	global_load_dwordx2 v[16:17], v[14:15], off
	global_load_dwordx2 v[21:22], v[4:5], off offset:1792
	s_waitcnt vmcnt(0)
	buffer_store_dword v21, off, s[24:27], 0 offset:112 ; 4-byte Folded Spill
	s_nop 0
	buffer_store_dword v22, off, s[24:27], 0 offset:116 ; 4-byte Folded Spill
	buffer_store_dword v24, off, s[24:27], 0 offset:120 ; 4-byte Folded Spill
	v_mul_f32_e32 v20, v17, v22
	v_fmac_f32_e32 v20, v16, v21
	v_mul_f32_e32 v16, v16, v22
	v_fma_f32 v21, v17, v21, -v16
	v_mad_u64_u32 v[16:17], s[22:23], s4, v24, 0
	v_mad_u64_u32 v[22:23], s[22:23], s5, v24, v[17:18]
	v_mov_b32_e32 v17, v22
	v_lshlrev_b32_e32 v22, 3, v24
	global_load_dwordx2 v[23:24], v22, s[8:9]
	v_lshlrev_b64 v[16:17], 3, v[16:17]
	buffer_store_dword v22, off, s[24:27], 0 offset:476 ; 4-byte Folded Spill
	v_add_co_u32_e32 v16, vcc, v8, v16
	v_addc_co_u32_e32 v17, vcc, v9, v17, vcc
	global_load_dwordx2 v[16:17], v[16:17], off
	v_add_co_u32_e32 v14, vcc, s20, v14
	s_waitcnt vmcnt(2)
	buffer_store_dword v23, off, s[24:27], 0 offset:132 ; 4-byte Folded Spill
	s_nop 0
	buffer_store_dword v24, off, s[24:27], 0 offset:136 ; 4-byte Folded Spill
	s_waitcnt vmcnt(2)
	v_mul_f32_e32 v22, v17, v24
	v_fmac_f32_e32 v22, v16, v23
	v_mul_f32_e32 v16, v16, v24
	v_fma_f32 v23, v17, v23, -v16
	v_mov_b32_e32 v16, s19
	v_addc_co_u32_e32 v15, vcc, v15, v16, vcc
	global_load_dwordx2 v[16:17], v[14:15], off
	global_load_dwordx2 v[25:26], v[6:7], off offset:2304
	v_add_co_u32_e32 v14, vcc, s18, v14
	s_waitcnt vmcnt(0)
	buffer_store_dword v25, off, s[24:27], 0 offset:88 ; 4-byte Folded Spill
	s_nop 0
	buffer_store_dword v26, off, s[24:27], 0 offset:92 ; 4-byte Folded Spill
	v_mul_f32_e32 v24, v17, v26
	v_fmac_f32_e32 v24, v16, v25
	v_mul_f32_e32 v16, v16, v26
	v_fma_f32 v25, v17, v25, -v16
	v_mov_b32_e32 v16, s17
	v_addc_co_u32_e32 v15, vcc, v15, v16, vcc
	v_add_co_u32_e32 v26, vcc, s15, v2
	v_addc_co_u32_e32 v27, vcc, 0, v3, vcc
	global_load_dwordx2 v[29:30], v[26:27], off offset:512
	global_load_dwordx2 v[16:17], v[14:15], off
	v_add_co_u32_e32 v14, vcc, s18, v14
                                        ; kill: killed $vgpr26 killed $vgpr27
	s_waitcnt vmcnt(1)
	buffer_store_dword v29, off, s[24:27], 0 offset:56 ; 4-byte Folded Spill
	s_nop 0
	buffer_store_dword v30, off, s[24:27], 0 offset:60 ; 4-byte Folded Spill
	s_waitcnt vmcnt(2)
	v_mul_f32_e32 v28, v17, v30
	v_mul_f32_e32 v2, v16, v30
	v_fmac_f32_e32 v28, v16, v29
	v_fma_f32 v29, v17, v29, -v2
	v_mov_b32_e32 v2, s17
	v_addc_co_u32_e32 v15, vcc, v15, v2, vcc
	global_load_dwordx2 v[2:3], v[14:15], off
	global_load_dwordx2 v[30:31], v[26:27], off offset:2816
	s_waitcnt vmcnt(0)
	buffer_store_dword v30, off, s[24:27], 0 offset:28 ; 4-byte Folded Spill
	s_nop 0
	buffer_store_dword v31, off, s[24:27], 0 offset:32 ; 4-byte Folded Spill
	buffer_store_dword v33, off, s[24:27], 0 ; 4-byte Folded Spill
	v_mul_f32_e32 v16, v3, v31
	v_fmac_f32_e32 v16, v2, v30
	v_mul_f32_e32 v2, v2, v31
	v_fma_f32 v17, v3, v30, -v2
	v_mad_u64_u32 v[2:3], s[22:23], s4, v33, 0
	v_mad_u64_u32 v[30:31], s[22:23], s5, v33, v[3:4]
	v_mov_b32_e32 v3, v30
	v_lshlrev_b64 v[2:3], 3, v[2:3]
	v_add_co_u32_e32 v2, vcc, v8, v2
	v_addc_co_u32_e32 v3, vcc, v9, v3, vcc
	global_load_dwordx2 v[30:31], v[2:3], off
	v_lshlrev_b32_e32 v2, 3, v33
	global_load_dwordx2 v[33:34], v2, s[8:9]
	v_add_co_u32_e32 v36, vcc, s21, v180
	buffer_store_dword v2, off, s[24:27], 0 offset:480 ; 4-byte Folded Spill
	s_waitcnt vmcnt(1)
	buffer_store_dword v33, off, s[24:27], 0 offset:4 ; 4-byte Folded Spill
	s_nop 0
	buffer_store_dword v34, off, s[24:27], 0 offset:8 ; 4-byte Folded Spill
	s_mul_i32 s21, s5, 0xffffbb00
	s_sub_i32 s21, s21, s4
	v_mul_f32_e32 v2, v31, v34
	v_fmac_f32_e32 v2, v30, v33
	v_mul_f32_e32 v3, v30, v34
	v_mov_b32_e32 v30, 0xffffbb00
	v_mad_u64_u32 v[14:15], s[22:23], s4, v30, v[14:15]
	v_fma_f32 v3, v31, v33, -v3
	v_add_u32_e32 v15, s21, v15
	global_load_dwordx2 v[30:31], v[14:15], off
	global_load_dwordx2 v[34:35], v167, s[8:9] offset:1536
	v_add_co_u32_e32 v14, vcc, s18, v14
	s_waitcnt vmcnt(0)
	buffer_store_dword v34, off, s[24:27], 0 offset:104 ; 4-byte Folded Spill
	s_nop 0
	buffer_store_dword v35, off, s[24:27], 0 offset:108 ; 4-byte Folded Spill
	s_movk_i32 s21, 0x420
	v_mul_f32_e32 v33, v31, v35
	v_fmac_f32_e32 v33, v30, v34
	v_mul_f32_e32 v30, v30, v35
	v_fma_f32 v34, v31, v34, -v30
	v_mov_b32_e32 v30, s17
	ds_write_b64 v167, v[33:34] offset:1536
	v_addc_co_u32_e32 v15, vcc, v15, v30, vcc
	global_load_dwordx2 v[30:31], v[14:15], off
	global_load_dwordx2 v[34:35], v167, s[8:9] offset:3840
	s_waitcnt vmcnt(0)
	buffer_store_dword v34, off, s[24:27], 0 offset:64 ; 4-byte Folded Spill
	s_nop 0
	buffer_store_dword v35, off, s[24:27], 0 offset:68 ; 4-byte Folded Spill
	v_mul_f32_e32 v33, v31, v35
	v_fmac_f32_e32 v33, v30, v34
	v_mul_f32_e32 v30, v30, v35
	v_fma_f32 v34, v31, v34, -v30
	ds_write2_b64 v142, v[10:11], v[33:34] offset0:128 offset1:224
	v_mad_u64_u32 v[10:11], s[22:23], s4, v198, 0
	v_mad_u64_u32 v[30:31], s[22:23], s5, v198, v[11:12]
	v_mov_b32_e32 v11, v30
	v_lshlrev_b32_e32 v30, 3, v198
	global_load_dwordx2 v[33:34], v30, s[8:9]
	v_lshlrev_b64 v[10:11], 3, v[10:11]
	buffer_store_dword v30, off, s[24:27], 0 offset:484 ; 4-byte Folded Spill
	v_add_co_u32_e32 v10, vcc, v8, v10
	v_addc_co_u32_e32 v11, vcc, v9, v11, vcc
	global_load_dwordx2 v[10:11], v[10:11], off
	s_waitcnt vmcnt(2)
	buffer_store_dword v33, off, s[24:27], 0 offset:48 ; 4-byte Folded Spill
	s_nop 0
	buffer_store_dword v34, off, s[24:27], 0 offset:52 ; 4-byte Folded Spill
	v_add_co_u32_e32 v154, vcc, s21, v180
	s_waitcnt vmcnt(2)
	v_mul_f32_e32 v30, v11, v34
	v_fmac_f32_e32 v30, v10, v33
	v_mul_f32_e32 v10, v10, v34
	v_fma_f32 v31, v11, v33, -v10
	v_add_co_u32_e32 v10, vcc, s20, v14
	v_mov_b32_e32 v11, s19
	ds_write2_b64 v203, v[18:19], v[30:31] offset0:32 offset1:128
	v_addc_co_u32_e32 v11, vcc, v15, v11, vcc
	global_load_dwordx2 v[14:15], v[10:11], off
	global_load_dwordx2 v[30:31], v[4:5], off offset:256
	s_waitcnt vmcnt(0)
	buffer_store_dword v30, off, s[24:27], 0 offset:20 ; 4-byte Folded Spill
	s_nop 0
	buffer_store_dword v31, off, s[24:27], 0 offset:24 ; 4-byte Folded Spill
	v_add_co_u32_e32 v10, vcc, s18, v10
	v_mul_f32_e32 v18, v15, v31
	v_fmac_f32_e32 v18, v14, v30
	v_mul_f32_e32 v14, v14, v31
	v_fma_f32 v19, v15, v30, -v14
	ds_write2_b64 v202, v[12:13], v[18:19] offset0:64 offset1:160
	v_mov_b32_e32 v12, s17
	v_addc_co_u32_e32 v11, vcc, v11, v12, vcc
	global_load_dwordx2 v[12:13], v[10:11], off
	global_load_dwordx2 v[14:15], v[4:5], off offset:2560
	s_waitcnt vmcnt(0)
	buffer_store_dword v14, off, s[24:27], 0 offset:96 ; 4-byte Folded Spill
	s_nop 0
	buffer_store_dword v15, off, s[24:27], 0 offset:100 ; 4-byte Folded Spill
	v_mul_f32_e32 v4, v13, v15
	v_mul_f32_e32 v5, v12, v15
	v_fmac_f32_e32 v4, v12, v14
	v_fma_f32 v5, v13, v14, -v5
	v_add_u32_e32 v12, 0x2400, v167
	ds_write2_b64 v12, v[20:21], v[4:5] offset0:96 offset1:192
	v_add_co_u32_e32 v4, vcc, s18, v10
	v_mov_b32_e32 v5, s17
	v_addc_co_u32_e32 v5, vcc, v11, v5, vcc
	v_mov_b32_e32 v160, v12
	global_load_dwordx2 v[10:11], v[4:5], off
	global_load_dwordx2 v[12:13], v[6:7], off offset:768
	s_waitcnt vmcnt(0)
	buffer_store_dword v12, off, s[24:27], 0 offset:72 ; 4-byte Folded Spill
	s_nop 0
	buffer_store_dword v13, off, s[24:27], 0 offset:76 ; 4-byte Folded Spill
	v_mul_f32_e32 v6, v11, v13
	v_mul_f32_e32 v7, v10, v13
	v_fmac_f32_e32 v6, v10, v12
	v_fma_f32 v7, v11, v12, -v7
	v_or_b32_e32 v12, 0x780, v180
	ds_write2_b64 v141, v[22:23], v[6:7] offset1:96
	v_mad_u64_u32 v[6:7], s[22:23], s4, v12, 0
	buffer_store_dword v12, off, s[24:27], 0 offset:44 ; 4-byte Folded Spill
	v_mad_u64_u32 v[10:11], s[4:5], s5, v12, v[7:8]
	v_mov_b32_e32 v7, v10
	v_lshlrev_b64 v[6:7], 3, v[6:7]
	v_add_co_u32_e32 v6, vcc, v8, v6
	v_lshlrev_b32_e32 v8, 3, v12
	v_addc_co_u32_e32 v7, vcc, v9, v7, vcc
	global_load_dwordx2 v[9:10], v8, s[8:9]
	v_add_co_u32_e32 v4, vcc, s20, v4
	global_load_dwordx2 v[6:7], v[6:7], off
	s_movk_i32 s8, 0xcd
	buffer_store_dword v8, off, s[24:27], 0 offset:488 ; 4-byte Folded Spill
	s_waitcnt vmcnt(2)
	buffer_store_dword v9, off, s[24:27], 0 offset:80 ; 4-byte Folded Spill
	s_nop 0
	buffer_store_dword v10, off, s[24:27], 0 offset:84 ; 4-byte Folded Spill
	s_waitcnt vmcnt(3)
	v_mul_f32_e32 v8, v7, v10
	v_fmac_f32_e32 v8, v6, v9
	v_mul_f32_e32 v6, v6, v10
	v_fma_f32 v9, v7, v9, -v6
	v_mov_b32_e32 v6, s19
	ds_write2_b64 v145, v[24:25], v[8:9] offset0:32 offset1:128
	v_addc_co_u32_e32 v5, vcc, v5, v6, vcc
	global_load_dwordx2 v[6:7], v[4:5], off
	global_load_dwordx2 v[9:10], v[26:27], off offset:1280
	s_waitcnt vmcnt(0)
	buffer_store_dword v9, off, s[24:27], 0 offset:36 ; 4-byte Folded Spill
	s_nop 0
	buffer_store_dword v10, off, s[24:27], 0 offset:40 ; 4-byte Folded Spill
	v_add_co_u32_e32 v4, vcc, s18, v4
	v_mul_f32_e32 v8, v7, v10
	v_fmac_f32_e32 v8, v6, v9
	v_mul_f32_e32 v6, v6, v10
	v_fma_f32 v9, v7, v9, -v6
	v_add_u32_e32 v6, 0x4000, v167
	ds_write2_b64 v6, v[28:29], v[8:9] offset0:64 offset1:160
	v_mov_b32_e32 v20, v6
	v_mov_b32_e32 v6, s17
	v_addc_co_u32_e32 v5, vcc, v5, v6, vcc
	global_load_dwordx2 v[6:7], v[4:5], off
	global_load_dwordx2 v[9:10], v[26:27], off offset:3584
	s_waitcnt vmcnt(0)
	buffer_store_dword v9, off, s[24:27], 0 offset:12 ; 4-byte Folded Spill
	s_nop 0
	buffer_store_dword v10, off, s[24:27], 0 offset:16 ; 4-byte Folded Spill
	v_add_co_u32_e32 v4, vcc, s18, v4
	v_mov_b32_e32 v212, v20
	v_mul_f32_e32 v8, v7, v10
	v_fmac_f32_e32 v8, v6, v9
	v_mul_f32_e32 v6, v6, v10
	v_fma_f32 v9, v7, v9, -v6
	v_mov_b32_e32 v6, s17
	ds_write2_b64 v140, v[16:17], v[8:9] offset0:96 offset1:192
	v_addc_co_u32_e32 v5, vcc, v5, v6, vcc
	global_load_dwordx2 v[6:7], v[4:5], off
	global_load_dwordx2 v[8:9], v[0:1], off offset:1792
	s_waitcnt vmcnt(0)
	buffer_store_dword v8, off, s[24:27], 0 offset:248 ; 4-byte Folded Spill
	s_nop 0
	buffer_store_dword v9, off, s[24:27], 0 offset:252 ; 4-byte Folded Spill
                                        ; kill: killed $vgpr4 killed $vgpr5
	v_add_u32_e32 v4, 0x400, v167
	v_mov_b32_e32 v213, v4
	v_mul_f32_e32 v0, v7, v9
	v_mul_f32_e32 v1, v6, v9
	v_fmac_f32_e32 v0, v6, v8
	v_fma_f32 v1, v7, v8, -v1
	ds_write2_b64 v143, v[2:3], v[0:1] offset0:128 offset1:224
	s_waitcnt vmcnt(0) lgkmcnt(0)
	s_barrier
	ds_read2_b64 v[0:3], v4 offset0:64 offset1:160
	v_add_u32_e32 v4, 0x1000, v167
	ds_read2_b64 v[41:44], v4 offset0:64 offset1:160
	v_mov_b32_e32 v209, v4
	v_add_u32_e32 v4, 0x2000, v167
	ds_read2_b64 v[45:48], v4 offset0:128 offset1:224
	v_mov_b32_e32 v210, v4
	v_add_u32_e32 v4, 0x2800, v167
	ds_read2_b64 v[28:31], v4 offset0:64 offset1:160
	v_mov_b32_e32 v181, v4
	v_add_u32_e32 v4, 0x3400, v167
	ds_read2_b64 v[49:52], v4 offset0:64 offset1:160
	ds_read2_b64 v[37:40], v167 offset1:96
	ds_read2_b64 v[24:27], v144 offset1:96
	ds_read2_b64 v[53:56], v145 offset0:128 offset1:224
	ds_read2_b64 v[57:60], v140 offset1:96
	s_waitcnt lgkmcnt(6)
	v_sub_f32_e32 v66, v41, v45
	s_waitcnt lgkmcnt(4)
	v_add_f32_e32 v34, v45, v49
	s_waitcnt lgkmcnt(3)
	v_fma_f32 v34, -0.5, v34, v37
	v_mov_b32_e32 v70, v34
	s_waitcnt lgkmcnt(0)
	v_sub_f32_e32 v35, v42, v58
	v_fmac_f32_e32 v70, 0x3f737871, v35
	v_sub_f32_e32 v65, v46, v50
	v_sub_f32_e32 v67, v57, v49
	v_fmac_f32_e32 v34, 0xbf737871, v35
	v_fmac_f32_e32 v70, 0x3f167918, v65
	v_add_f32_e32 v66, v66, v67
	v_fmac_f32_e32 v34, 0xbf167918, v65
	v_fmac_f32_e32 v70, 0x3e9e377a, v66
	;; [unrolled: 1-line block ×3, first 2 shown]
	v_add_f32_e32 v66, v41, v57
	v_add_f32_e32 v33, v37, v41
	v_fma_f32 v37, -0.5, v66, v37
	v_mov_b32_e32 v72, v37
	v_fmac_f32_e32 v72, 0xbf737871, v65
	v_fmac_f32_e32 v37, 0x3f737871, v65
	v_add_f32_e32 v65, v46, v50
	v_add_f32_e32 v33, v33, v45
	v_fma_f32 v78, -0.5, v65, v38
	v_add_f32_e32 v33, v33, v49
	v_sub_f32_e32 v66, v45, v41
	v_sub_f32_e32 v41, v41, v57
	v_mov_b32_e32 v74, v78
	v_add_f32_e32 v33, v33, v57
	v_sub_f32_e32 v67, v49, v57
	v_fmac_f32_e32 v74, 0xbf737871, v41
	v_sub_f32_e32 v45, v45, v49
	v_sub_f32_e32 v49, v42, v46
	;; [unrolled: 1-line block ×3, first 2 shown]
	v_fmac_f32_e32 v78, 0x3f737871, v41
	v_fmac_f32_e32 v74, 0xbf167918, v45
	v_add_f32_e32 v49, v49, v57
	v_fmac_f32_e32 v78, 0x3f167918, v45
	v_fmac_f32_e32 v74, 0x3e9e377a, v49
	;; [unrolled: 1-line block ×3, first 2 shown]
	v_add_f32_e32 v49, v42, v58
	v_mov_b32_e32 v208, v4
	v_add_u32_e32 v4, 0x4c00, v167
	v_fmac_f32_e32 v72, 0x3f167918, v35
	v_fmac_f32_e32 v37, 0xbf167918, v35
	v_add_f32_e32 v35, v38, v42
	v_fma_f32 v38, -0.5, v49, v38
	ds_read2_b64 v[61:64], v4 offset0:64 offset1:160
	v_mov_b32_e32 v49, v38
	v_add_f32_e32 v35, v35, v46
	v_fmac_f32_e32 v49, 0x3f737871, v45
	v_sub_f32_e32 v42, v46, v42
	v_sub_f32_e32 v46, v50, v58
	v_fmac_f32_e32 v38, 0xbf737871, v45
	v_fmac_f32_e32 v49, 0xbf167918, v41
	v_add_f32_e32 v42, v42, v46
	v_fmac_f32_e32 v38, 0x3f167918, v41
	v_fmac_f32_e32 v49, 0x3e9e377a, v42
	v_fmac_f32_e32 v38, 0x3e9e377a, v42
	v_add_f32_e32 v42, v30, v55
	v_fma_f32 v42, -0.5, v42, v2
	v_add_f32_e32 v35, v35, v50
	s_waitcnt lgkmcnt(0)
	v_sub_f32_e32 v45, v27, v64
	v_mov_b32_e32 v46, v42
	v_add_f32_e32 v35, v35, v58
	v_fmac_f32_e32 v46, 0x3f737871, v45
	v_sub_f32_e32 v50, v31, v56
	v_sub_f32_e32 v57, v26, v30
	;; [unrolled: 1-line block ×3, first 2 shown]
	v_fmac_f32_e32 v42, 0xbf737871, v45
	v_fmac_f32_e32 v46, 0x3f167918, v50
	v_add_f32_e32 v57, v57, v58
	v_fmac_f32_e32 v42, 0xbf167918, v50
	v_fmac_f32_e32 v46, 0x3e9e377a, v57
	;; [unrolled: 1-line block ×3, first 2 shown]
	v_add_f32_e32 v57, v26, v63
	v_add_f32_e32 v66, v66, v67
	;; [unrolled: 1-line block ×3, first 2 shown]
	v_fma_f32 v2, -0.5, v57, v2
	v_fmac_f32_e32 v72, 0x3e9e377a, v66
	v_fmac_f32_e32 v37, 0x3e9e377a, v66
	v_mov_b32_e32 v66, v2
	v_fmac_f32_e32 v66, 0xbf737871, v50
	v_fmac_f32_e32 v2, 0x3f737871, v50
	v_add_f32_e32 v50, v31, v56
	v_sub_f32_e32 v57, v30, v26
	v_sub_f32_e32 v58, v55, v63
	v_fma_f32 v50, -0.5, v50, v3
	v_add_f32_e32 v41, v41, v30
	v_fmac_f32_e32 v66, 0x3f167918, v45
	v_add_f32_e32 v57, v57, v58
	v_fmac_f32_e32 v2, 0xbf167918, v45
	v_sub_f32_e32 v26, v26, v63
	v_mov_b32_e32 v58, v50
	v_add_f32_e32 v41, v41, v55
	v_fmac_f32_e32 v66, 0x3e9e377a, v57
	v_fmac_f32_e32 v2, 0x3e9e377a, v57
	;; [unrolled: 1-line block ×3, first 2 shown]
	v_sub_f32_e32 v30, v30, v55
	v_sub_f32_e32 v55, v27, v31
	v_sub_f32_e32 v57, v64, v56
	v_fmac_f32_e32 v50, 0x3f737871, v26
	v_fmac_f32_e32 v58, 0xbf167918, v30
	v_add_f32_e32 v55, v55, v57
	v_fmac_f32_e32 v50, 0x3f167918, v30
	v_fmac_f32_e32 v58, 0x3e9e377a, v55
	;; [unrolled: 1-line block ×3, first 2 shown]
	v_add_f32_e32 v55, v27, v64
	v_add_f32_e32 v45, v3, v27
	v_fma_f32 v3, -0.5, v55, v3
	v_add_f32_e32 v45, v45, v31
	v_mov_b32_e32 v68, v3
	v_sub_f32_e32 v27, v31, v27
	v_sub_f32_e32 v31, v56, v64
	v_fmac_f32_e32 v3, 0xbf737871, v30
	v_add_f32_e32 v27, v27, v31
	v_fmac_f32_e32 v3, 0x3f167918, v26
	v_fmac_f32_e32 v68, 0x3f737871, v30
	v_fmac_f32_e32 v3, 0x3e9e377a, v27
	v_mul_f32_e32 v30, 0xbe9e377a, v2
	v_fmac_f32_e32 v30, 0x3f737871, v3
	v_mul_f32_e32 v3, 0xbe9e377a, v3
	v_fmac_f32_e32 v68, 0xbf167918, v26
	v_fmac_f32_e32 v3, 0xbf737871, v2
	v_mul_f32_e32 v2, 0xbf4f1bbd, v50
	v_fmac_f32_e32 v68, 0x3e9e377a, v27
	v_mul_f32_e32 v76, 0xbf737871, v66
	;; [unrolled: 2-line block ×3, first 2 shown]
	v_fmac_f32_e32 v76, 0x3e9e377a, v68
	v_add_f32_e32 v68, v78, v2
	v_sub_f32_e32 v78, v78, v2
	v_add_f32_e32 v2, v39, v43
	v_mul_f32_e32 v26, 0x3f4f1bbd, v46
	v_add_f32_e32 v2, v2, v47
	v_fmac_f32_e32 v26, 0x3f167918, v58
	v_add_f32_e32 v2, v2, v51
	v_add_f32_e32 v57, v70, v26
	v_fmac_f32_e32 v27, 0x3e9e377a, v66
	v_sub_f32_e32 v71, v70, v26
	v_add_f32_e32 v26, v2, v59
	v_add_f32_e32 v2, v47, v51
	v_add_f32_e32 v41, v41, v63
	v_add_f32_e32 v63, v72, v27
	v_mul_f32_e32 v31, 0xbf4f1bbd, v42
	v_mul_f32_e32 v46, 0xbf167918, v46
	v_sub_f32_e32 v73, v72, v27
	v_fma_f32 v27, -0.5, v2, v39
	v_add_f32_e32 v45, v45, v56
	v_add_f32_e32 v65, v37, v30
	v_fmac_f32_e32 v31, 0x3f167918, v50
	v_fmac_f32_e32 v46, 0x3f4f1bbd, v58
	v_sub_f32_e32 v75, v37, v30
	v_sub_f32_e32 v2, v44, v60
	v_mov_b32_e32 v30, v27
	v_add_f32_e32 v45, v45, v64
	v_add_f32_e32 v55, v33, v41
	;; [unrolled: 1-line block ×6, first 2 shown]
	v_sub_f32_e32 v69, v33, v41
	v_sub_f32_e32 v77, v34, v31
	;; [unrolled: 1-line block ×5, first 2 shown]
	v_fmac_f32_e32 v30, 0x3f737871, v2
	v_sub_f32_e32 v3, v48, v52
	v_sub_f32_e32 v31, v43, v47
	v_sub_f32_e32 v33, v59, v51
	v_fmac_f32_e32 v27, 0xbf737871, v2
	v_fmac_f32_e32 v30, 0x3f167918, v3
	v_add_f32_e32 v31, v31, v33
	v_fmac_f32_e32 v27, 0xbf167918, v3
	v_fmac_f32_e32 v30, 0x3e9e377a, v31
	;; [unrolled: 1-line block ×3, first 2 shown]
	v_add_f32_e32 v31, v43, v59
	v_fma_f32 v31, -0.5, v31, v39
	v_mov_b32_e32 v33, v31
	v_fmac_f32_e32 v33, 0xbf737871, v3
	v_fmac_f32_e32 v31, 0x3f737871, v3
	;; [unrolled: 1-line block ×4, first 2 shown]
	v_add_f32_e32 v2, v40, v44
	v_add_f32_e32 v56, v35, v45
	v_sub_f32_e32 v70, v35, v45
	v_sub_f32_e32 v34, v47, v43
	;; [unrolled: 1-line block ×3, first 2 shown]
	v_add_f32_e32 v2, v2, v48
	v_add_f32_e32 v34, v34, v35
	;; [unrolled: 1-line block ×3, first 2 shown]
	v_fmac_f32_e32 v33, 0x3e9e377a, v34
	v_fmac_f32_e32 v31, 0x3e9e377a, v34
	v_add_f32_e32 v34, v2, v60
	v_add_f32_e32 v2, v48, v52
	v_fma_f32 v35, -0.5, v2, v40
	v_sub_f32_e32 v2, v43, v59
	v_mov_b32_e32 v38, v35
	v_fmac_f32_e32 v38, 0xbf737871, v2
	v_sub_f32_e32 v3, v47, v51
	v_sub_f32_e32 v37, v44, v48
	;; [unrolled: 1-line block ×3, first 2 shown]
	v_fmac_f32_e32 v35, 0x3f737871, v2
	v_fmac_f32_e32 v38, 0xbf167918, v3
	v_add_f32_e32 v37, v37, v39
	v_fmac_f32_e32 v35, 0x3f167918, v3
	v_fmac_f32_e32 v38, 0x3e9e377a, v37
	;; [unrolled: 1-line block ×3, first 2 shown]
	v_add_f32_e32 v37, v44, v60
	v_mov_b32_e32 v211, v4
	ds_read2_b64 v[4:7], v142 offset0:128 offset1:224
	ds_read2_b64 v[8:11], v202 offset0:64 offset1:160
	ds_read2_b64 v[12:15], v141 offset1:96
	ds_read2_b64 v[16:19], v20 offset0:64 offset1:160
	v_fmac_f32_e32 v40, -0.5, v37
	ds_read2_b64 v[20:23], v143 offset0:128 offset1:224
	v_mov_b32_e32 v59, v40
	v_fmac_f32_e32 v59, 0x3f737871, v3
	v_fmac_f32_e32 v40, 0xbf737871, v3
	;; [unrolled: 1-line block ×4, first 2 shown]
	s_waitcnt lgkmcnt(3)
	v_add_f32_e32 v2, v4, v8
	v_sub_f32_e32 v37, v48, v44
	v_sub_f32_e32 v39, v52, v60
	s_waitcnt lgkmcnt(2)
	v_add_f32_e32 v2, v2, v12
	v_add_f32_e32 v37, v37, v39
	s_waitcnt lgkmcnt(1)
	v_add_f32_e32 v2, v2, v16
	v_fmac_f32_e32 v59, 0x3e9e377a, v37
	v_fmac_f32_e32 v40, 0x3e9e377a, v37
	s_waitcnt lgkmcnt(0)
	v_add_f32_e32 v37, v2, v20
	v_add_f32_e32 v2, v12, v16
	v_fma_f32 v39, -0.5, v2, v4
	v_sub_f32_e32 v2, v9, v21
	v_mov_b32_e32 v42, v39
	v_fmac_f32_e32 v42, 0x3f737871, v2
	v_sub_f32_e32 v3, v13, v17
	v_sub_f32_e32 v41, v8, v12
	;; [unrolled: 1-line block ×3, first 2 shown]
	v_fmac_f32_e32 v39, 0xbf737871, v2
	v_fmac_f32_e32 v42, 0x3f167918, v3
	v_add_f32_e32 v41, v41, v43
	v_fmac_f32_e32 v39, 0xbf167918, v3
	v_fmac_f32_e32 v42, 0x3e9e377a, v41
	;; [unrolled: 1-line block ×3, first 2 shown]
	v_add_f32_e32 v41, v8, v20
	v_fma_f32 v44, -0.5, v41, v4
	v_mov_b32_e32 v46, v44
	v_fmac_f32_e32 v46, 0xbf737871, v3
	v_fmac_f32_e32 v44, 0x3f737871, v3
	;; [unrolled: 1-line block ×4, first 2 shown]
	v_add_f32_e32 v2, v5, v9
	v_add_f32_e32 v2, v2, v13
	;; [unrolled: 1-line block ×5, first 2 shown]
	v_sub_f32_e32 v4, v12, v8
	v_sub_f32_e32 v41, v16, v20
	v_fma_f32 v47, -0.5, v2, v5
	v_add_f32_e32 v4, v4, v41
	v_sub_f32_e32 v2, v8, v20
	v_mov_b32_e32 v8, v47
	v_fmac_f32_e32 v46, 0x3e9e377a, v4
	v_fmac_f32_e32 v44, 0x3e9e377a, v4
	;; [unrolled: 1-line block ×3, first 2 shown]
	v_sub_f32_e32 v3, v12, v16
	v_sub_f32_e32 v4, v9, v13
	;; [unrolled: 1-line block ×3, first 2 shown]
	v_fmac_f32_e32 v47, 0x3f737871, v2
	v_fmac_f32_e32 v8, 0xbf167918, v3
	v_add_f32_e32 v4, v4, v12
	v_fmac_f32_e32 v47, 0x3f167918, v3
	v_fmac_f32_e32 v8, 0x3e9e377a, v4
	;; [unrolled: 1-line block ×3, first 2 shown]
	v_add_f32_e32 v4, v9, v21
	v_fma_f32 v12, -0.5, v4, v5
	v_mov_b32_e32 v16, v12
	v_fmac_f32_e32 v16, 0x3f737871, v3
	v_sub_f32_e32 v4, v13, v9
	v_sub_f32_e32 v5, v17, v21
	v_fmac_f32_e32 v16, 0xbf167918, v2
	v_add_f32_e32 v4, v4, v5
	v_mul_f32_e32 v9, 0x3f4f1bbd, v42
	v_mul_f32_e32 v21, 0xbf167918, v42
	v_fmac_f32_e32 v16, 0x3e9e377a, v4
	v_fmac_f32_e32 v9, 0x3f167918, v8
	;; [unrolled: 1-line block ×3, first 2 shown]
	v_mul_f32_e32 v8, 0xbf737871, v46
	v_fmac_f32_e32 v8, 0x3e9e377a, v16
	v_add_f32_e32 v42, v59, v8
	v_sub_f32_e32 v52, v59, v8
	v_add_f32_e32 v8, v0, v24
	v_fmac_f32_e32 v12, 0xbf737871, v3
	v_mul_f32_e32 v20, 0xbf4f1bbd, v39
	v_add_f32_e32 v8, v8, v28
	v_fmac_f32_e32 v12, 0x3f167918, v2
	v_mul_f32_e32 v13, 0x3f737871, v16
	v_fmac_f32_e32 v20, 0x3f167918, v47
	v_mul_f32_e32 v16, 0xbf4f1bbd, v47
	v_add_f32_e32 v8, v8, v53
	v_fmac_f32_e32 v12, 0x3e9e377a, v4
	v_mul_f32_e32 v17, 0xbe9e377a, v44
	v_add_f32_e32 v45, v27, v20
	v_fmac_f32_e32 v16, 0xbf167918, v39
	v_sub_f32_e32 v39, v27, v20
	v_add_f32_e32 v20, v8, v61
	v_add_f32_e32 v8, v28, v53
	v_fmac_f32_e32 v17, 0x3f737871, v12
	v_add_f32_e32 v5, v38, v21
	v_mul_f32_e32 v12, 0xbe9e377a, v12
	v_sub_f32_e32 v50, v38, v21
	v_fma_f32 v21, -0.5, v8, v0
	v_add_f32_e32 v2, v26, v37
	v_fmac_f32_e32 v13, 0x3e9e377a, v46
	v_fmac_f32_e32 v12, 0xbf737871, v44
	v_sub_f32_e32 v47, v26, v37
	v_sub_f32_e32 v8, v25, v62
	v_mov_b32_e32 v26, v21
	v_add_f32_e32 v4, v30, v9
	v_add_f32_e32 v41, v33, v13
	;; [unrolled: 1-line block ×3, first 2 shown]
	v_sub_f32_e32 v49, v30, v9
	v_sub_f32_e32 v51, v33, v13
	;; [unrolled: 1-line block ×3, first 2 shown]
	v_fmac_f32_e32 v26, 0x3f737871, v8
	v_sub_f32_e32 v9, v29, v54
	v_sub_f32_e32 v12, v24, v28
	;; [unrolled: 1-line block ×3, first 2 shown]
	v_fmac_f32_e32 v21, 0xbf737871, v8
	v_fmac_f32_e32 v26, 0x3f167918, v9
	v_add_f32_e32 v12, v12, v13
	v_fmac_f32_e32 v21, 0xbf167918, v9
	v_fmac_f32_e32 v26, 0x3e9e377a, v12
	;; [unrolled: 1-line block ×3, first 2 shown]
	v_add_f32_e32 v12, v24, v61
	v_fma_f32 v0, -0.5, v12, v0
	v_mov_b32_e32 v27, v0
	v_fmac_f32_e32 v27, 0xbf737871, v9
	v_fmac_f32_e32 v0, 0x3f737871, v9
	;; [unrolled: 1-line block ×4, first 2 shown]
	v_add_f32_e32 v8, v1, v25
	v_add_f32_e32 v8, v8, v29
	v_add_f32_e32 v8, v8, v54
	v_add_f32_e32 v30, v8, v62
	v_add_f32_e32 v8, v29, v54
	v_add_f32_e32 v43, v31, v17
	v_sub_f32_e32 v37, v31, v17
	v_sub_f32_e32 v12, v28, v24
	;; [unrolled: 1-line block ×3, first 2 shown]
	v_fma_f32 v31, -0.5, v8, v1
	v_add_f32_e32 v12, v12, v13
	v_sub_f32_e32 v8, v24, v61
	v_mov_b32_e32 v33, v31
	v_fmac_f32_e32 v27, 0x3e9e377a, v12
	v_fmac_f32_e32 v0, 0x3e9e377a, v12
	v_fmac_f32_e32 v33, 0xbf737871, v8
	v_sub_f32_e32 v9, v28, v53
	v_sub_f32_e32 v12, v25, v29
	v_sub_f32_e32 v13, v62, v54
	v_fmac_f32_e32 v31, 0x3f737871, v8
	v_fmac_f32_e32 v33, 0xbf167918, v9
	v_add_f32_e32 v12, v12, v13
	v_fmac_f32_e32 v31, 0x3f167918, v9
	v_fmac_f32_e32 v33, 0x3e9e377a, v12
	;; [unrolled: 1-line block ×3, first 2 shown]
	v_add_f32_e32 v12, v25, v62
	v_fmac_f32_e32 v1, -0.5, v12
	v_mov_b32_e32 v28, v1
	v_fmac_f32_e32 v28, 0x3f737871, v9
	v_fmac_f32_e32 v1, 0xbf737871, v9
	;; [unrolled: 1-line block ×4, first 2 shown]
	v_add_f32_e32 v8, v6, v10
	v_add_f32_e32 v8, v8, v14
	;; [unrolled: 1-line block ×5, first 2 shown]
	v_sub_f32_e32 v12, v29, v25
	v_sub_f32_e32 v13, v54, v62
	v_fma_f32 v17, -0.5, v8, v6
	v_add_f32_e32 v12, v12, v13
	v_sub_f32_e32 v8, v11, v23
	v_mov_b32_e32 v13, v17
	v_add_f32_e32 v46, v35, v16
	v_sub_f32_e32 v40, v35, v16
	v_fmac_f32_e32 v28, 0x3e9e377a, v12
	v_fmac_f32_e32 v1, 0x3e9e377a, v12
	;; [unrolled: 1-line block ×3, first 2 shown]
	v_sub_f32_e32 v9, v15, v19
	v_sub_f32_e32 v12, v10, v14
	;; [unrolled: 1-line block ×3, first 2 shown]
	v_fmac_f32_e32 v17, 0xbf737871, v8
	v_fmac_f32_e32 v13, 0x3f167918, v9
	v_add_f32_e32 v12, v12, v16
	v_fmac_f32_e32 v17, 0xbf167918, v9
	v_fmac_f32_e32 v13, 0x3e9e377a, v12
	v_fmac_f32_e32 v17, 0x3e9e377a, v12
	v_add_f32_e32 v12, v10, v22
	v_fma_f32 v6, -0.5, v12, v6
	v_mov_b32_e32 v25, v6
	v_fmac_f32_e32 v25, 0xbf737871, v9
	v_fmac_f32_e32 v6, 0x3f737871, v9
	;; [unrolled: 1-line block ×4, first 2 shown]
	v_add_f32_e32 v8, v7, v11
	v_add_f32_e32 v8, v8, v15
	;; [unrolled: 1-line block ×6, first 2 shown]
	v_sub_f32_e32 v48, v34, v48
	v_sub_f32_e32 v12, v14, v10
	;; [unrolled: 1-line block ×3, first 2 shown]
	v_fma_f32 v34, -0.5, v8, v7
	v_add_f32_e32 v12, v12, v16
	v_sub_f32_e32 v8, v10, v22
	v_mov_b32_e32 v22, v34
	v_fmac_f32_e32 v25, 0x3e9e377a, v12
	v_fmac_f32_e32 v6, 0x3e9e377a, v12
	;; [unrolled: 1-line block ×3, first 2 shown]
	v_sub_f32_e32 v9, v14, v18
	v_sub_f32_e32 v10, v11, v15
	;; [unrolled: 1-line block ×3, first 2 shown]
	v_fmac_f32_e32 v34, 0x3f737871, v8
	v_fmac_f32_e32 v22, 0xbf167918, v9
	v_add_f32_e32 v10, v10, v12
	v_fmac_f32_e32 v34, 0x3f167918, v9
	v_fmac_f32_e32 v22, 0x3e9e377a, v10
	;; [unrolled: 1-line block ×3, first 2 shown]
	v_add_f32_e32 v10, v11, v23
	v_fmac_f32_e32 v7, -0.5, v10
	v_mov_b32_e32 v18, v7
	v_fmac_f32_e32 v18, 0x3f737871, v9
	v_sub_f32_e32 v10, v15, v11
	v_sub_f32_e32 v11, v19, v23
	v_fmac_f32_e32 v18, 0xbf167918, v8
	v_add_f32_e32 v10, v10, v11
	v_fmac_f32_e32 v18, 0x3e9e377a, v10
	v_fmac_f32_e32 v7, 0xbf737871, v9
	;; [unrolled: 1-line block ×3, first 2 shown]
	v_mul_f32_e32 v19, 0x3f4f1bbd, v13
	v_mul_f32_e32 v23, 0x3f737871, v18
	;; [unrolled: 1-line block ×4, first 2 shown]
	v_fmac_f32_e32 v7, 0x3e9e377a, v10
	v_fmac_f32_e32 v19, 0x3f167918, v22
	;; [unrolled: 1-line block ×3, first 2 shown]
	v_mul_f32_e32 v35, 0xbe9e377a, v6
	v_fmac_f32_e32 v53, 0x3f167918, v34
	v_fmac_f32_e32 v54, 0x3f4f1bbd, v22
	v_mul_f32_e32 v25, 0xbf737871, v25
	v_add_f32_e32 v8, v20, v24
	v_add_f32_e32 v10, v26, v19
	v_fmac_f32_e32 v35, 0x3f737871, v7
	v_add_f32_e32 v16, v21, v53
	v_add_f32_e32 v11, v33, v54
	v_fmac_f32_e32 v25, 0x3e9e377a, v18
	v_sub_f32_e32 v18, v20, v24
	v_sub_f32_e32 v20, v26, v19
	v_sub_f32_e32 v26, v21, v53
	v_sub_f32_e32 v21, v33, v54
	v_mul_lo_u16_sdwa v33, v180, s8 dst_sel:DWORD dst_unused:UNUSED_PAD src0_sel:BYTE_0 src1_sel:DWORD
	v_add_f32_e32 v14, v0, v35
	v_mul_f32_e32 v7, 0xbe9e377a, v7
	v_sub_f32_e32 v24, v0, v35
	v_mul_lo_u16_e32 v0, 10, v180
	v_lshrrev_b16_e32 v33, 11, v33
	v_fmac_f32_e32 v7, 0xbf737871, v6
	v_mul_f32_e32 v6, 0xbf4f1bbd, v34
	v_lshlrev_b32_e32 v0, 3, v0
	v_mul_lo_u16_e32 v34, 10, v33
	s_barrier
	buffer_store_dword v0, off, s[24:27], 0 offset:456 ; 4-byte Folded Spill
	ds_write_b128 v0, v[55:58]
	ds_write_b128 v0, v[63:66] offset:16
	ds_write_b128 v0, v[67:70] offset:32
	;; [unrolled: 1-line block ×4, first 2 shown]
	v_mul_u32_u24_e32 v0, 10, v32
	v_sub_u16_e32 v34, v180, v34
	v_lshlrev_b32_e32 v0, 3, v0
	v_and_b32_e32 v34, 0xff, v34
	buffer_store_dword v0, off, s[24:27], 0 offset:452 ; 4-byte Folded Spill
	ds_write_b128 v0, v[2:5]
	ds_write_b128 v0, v[41:44] offset:16
	ds_write_b128 v0, v[45:48] offset:32
	;; [unrolled: 1-line block ×4, first 2 shown]
	v_mad_u64_u32 v[37:38], s[4:5], v34, 40, s[10:11]
	v_fmac_f32_e32 v6, 0xbf167918, v17
	v_mul_u32_u24_e32 v0, 10, v36
	v_add_f32_e32 v12, v27, v23
	v_add_f32_e32 v9, v30, v29
	;; [unrolled: 1-line block ×5, first 2 shown]
	v_sub_f32_e32 v22, v27, v23
	v_sub_f32_e32 v19, v30, v29
	;; [unrolled: 1-line block ×5, first 2 shown]
	v_lshlrev_b32_e32 v0, 3, v0
	buffer_store_dword v0, off, s[24:27], 0 offset:448 ; 4-byte Folded Spill
	ds_write_b128 v0, v[8:11]
	ds_write_b128 v0, v[12:15] offset:16
	ds_write_b128 v0, v[16:19] offset:32
	ds_write_b128 v0, v[20:23] offset:48
	ds_write_b128 v0, v[24:27] offset:64
	s_waitcnt vmcnt(0) lgkmcnt(0)
	s_barrier
	ds_read2_b64 v[8:11], v167 offset1:96
	ds_read2_b64 v[0:3], v142 offset0:128 offset1:224
	ds_read2_b64 v[48:51], v202 offset0:64 offset1:160
	;; [unrolled: 1-line block ×4, first 2 shown]
	ds_read2_b64 v[12:15], v140 offset1:96
	ds_read2_b64 v[60:63], v209 offset0:64 offset1:160
	ds_read2_b64 v[68:71], v141 offset1:96
	ds_read2_b64 v[72:75], v211 offset0:64 offset1:160
	ds_read2_b64 v[4:7], v213 offset0:64 offset1:160
	;; [unrolled: 1-line block ×4, first 2 shown]
	ds_read2_b64 v[28:31], v144 offset1:96
	ds_read2_b64 v[24:27], v208 offset0:64 offset1:160
	ds_read2_b64 v[16:19], v143 offset0:128 offset1:224
	global_load_dwordx2 v[200:201], v[37:38], off offset:32
	global_load_dwordx4 v[40:43], v[37:38], off offset:16
	global_load_dwordx4 v[44:47], v[37:38], off
	s_waitcnt vmcnt(2) lgkmcnt(9)
	v_mul_f32_e32 v83, v14, v201
	v_fmac_f32_e32 v83, v15, v200
	s_waitcnt vmcnt(0)
	v_mul_f32_e32 v35, v3, v45
	v_fma_f32 v35, v2, v44, -v35
	v_mul_f32_e32 v37, v2, v45
	v_mul_f32_e32 v2, v49, v47
	v_fma_f32 v84, v48, v46, -v2
	v_mul_f32_e32 v2, v23, v41
	v_fma_f32 v80, v22, v40, -v2
	;; [unrolled: 2-line block ×4, first 2 shown]
	v_mul_lo_u16_sdwa v2, v32, s8 dst_sel:DWORD dst_unused:UNUSED_PAD src0_sel:BYTE_0 src1_sel:DWORD
	v_lshrrev_b16_e32 v2, 11, v2
	v_fmac_f32_e32 v37, v3, v44
	v_mul_lo_u16_e32 v3, 10, v2
	v_sub_u16_e32 v3, v32, v3
	v_and_b32_e32 v3, 0xff, v3
	v_mad_u64_u32 v[14:15], s[4:5], v3, 40, s[10:11]
	global_load_dwordx2 v[206:207], v[14:15], off offset:32
	global_load_dwordx4 v[56:59], v[14:15], off offset:16
	global_load_dwordx4 v[64:67], v[14:15], off
	s_mov_b32 s4, 0xcccd
	v_mul_f32_e32 v81, v22, v41
	v_mul_f32_e32 v85, v48, v47
	v_fmac_f32_e32 v81, v23, v40
	v_mul_f32_e32 v90, v52, v43
	v_fmac_f32_e32 v85, v49, v46
	v_fmac_f32_e32 v90, v53, v42
	v_mul_u32_u24_e32 v2, 60, v2
	v_add_lshl_u32 v2, v2, v3, 3
	v_mov_b32_e32 v3, v213
	s_waitcnt vmcnt(2) lgkmcnt(6)
	v_mul_f32_e32 v93, v72, v207
	s_waitcnt vmcnt(1)
	v_mul_f32_e32 v97, v54, v59
	s_waitcnt vmcnt(0)
	v_mul_f32_e32 v14, v61, v65
	v_fma_f32 v38, v60, v64, -v14
	v_mul_f32_e32 v14, v51, v67
	v_fma_f32 v94, v50, v66, -v14
	;; [unrolled: 2-line block ×5, first 2 shown]
	v_mul_u32_u24_sdwa v14, v36, s4 dst_sel:DWORD dst_unused:UNUSED_PAD src0_sel:WORD_0 src1_sel:DWORD
	v_lshrrev_b32_e32 v14, 19, v14
	v_mul_lo_u16_e32 v15, 10, v14
	v_sub_u16_e32 v15, v36, v15
	v_mul_lo_u16_e32 v22, 40, v15
	v_add_co_u32_e32 v22, vcc, s10, v22
	v_mul_f32_e32 v95, v50, v67
	v_addc_co_u32_e32 v23, vcc, 0, v155, vcc
	v_fmac_f32_e32 v95, v51, v66
	v_fmac_f32_e32 v97, v55, v58
	global_load_dwordx2 v[204:205], v[22:23], off offset:32
	global_load_dwordx4 v[48:51], v[22:23], off offset:16
	global_load_dwordx4 v[52:55], v[22:23], off
	v_mul_f32_e32 v39, v60, v65
	v_mul_f32_e32 v88, v68, v57
	v_fmac_f32_e32 v88, v69, v56
	v_fmac_f32_e32 v39, v61, v64
	v_fmac_f32_e32 v93, v73, v206
	s_waitcnt vmcnt(2)
	v_mul_f32_e32 v102, v74, v205
	s_waitcnt vmcnt(1)
	v_mul_f32_e32 v99, v70, v49
	;; [unrolled: 2-line block ×3, first 2 shown]
	v_fma_f32 v89, v62, v52, -v22
	s_waitcnt lgkmcnt(4)
	v_mul_f32_e32 v22, v77, v55
	v_fma_f32 v103, v76, v54, -v22
	v_mul_f32_e32 v22, v71, v49
	v_fma_f32 v98, v70, v48, -v22
	s_waitcnt lgkmcnt(3)
	v_mul_f32_e32 v22, v106, v51
	v_fma_f32 v109, v105, v50, -v22
	v_mul_f32_e32 v22, v75, v205
	v_fma_f32 v100, v74, v204, -v22
	v_mul_u32_u24_sdwa v22, v149, s4 dst_sel:DWORD dst_unused:UNUSED_PAD src0_sel:WORD_0 src1_sel:DWORD
	v_lshrrev_b32_e32 v22, 19, v22
	v_mul_lo_u16_e32 v23, 10, v22
	v_sub_u16_e32 v23, v149, v23
	v_mul_lo_u16_e32 v60, 40, v23
	v_add_co_u32_e32 v68, vcc, s10, v60
	v_mul_f32_e32 v91, v62, v53
	v_addc_co_u32_e32 v69, vcc, 0, v155, vcc
	v_fmac_f32_e32 v91, v63, v52
	v_fmac_f32_e32 v99, v71, v48
	global_load_dwordx2 v[194:195], v[68:69], off offset:32
	global_load_dwordx4 v[60:63], v[68:69], off offset:16
	s_nop 0
	global_load_dwordx4 v[68:71], v[68:69], off
	v_mul_f32_e32 v105, v105, v51
	v_fmac_f32_e32 v105, v106, v50
	v_mul_f32_e32 v104, v76, v55
	v_fmac_f32_e32 v104, v77, v54
	v_fmac_f32_e32 v102, v75, v204
	s_movk_i32 s4, 0x89
	s_waitcnt vmcnt(2) lgkmcnt(0)
	v_mul_f32_e32 v114, v16, v195
	s_waitcnt vmcnt(1)
	v_mul_f32_e32 v112, v24, v61
	s_waitcnt vmcnt(0)
	v_mul_f32_e32 v72, v29, v69
	v_fma_f32 v101, v28, v68, -v72
	v_mul_f32_e32 v28, v28, v69
	v_fmac_f32_e32 v28, v29, v68
	v_mul_f32_e32 v29, v79, v71
	v_fma_f32 v106, v78, v70, -v29
	v_mul_f32_e32 v29, v25, v61
	v_fma_f32 v111, v24, v60, -v29
	;; [unrolled: 2-line block ×3, first 2 shown]
	v_mul_f32_e32 v107, v107, v63
	v_mul_f32_e32 v24, v17, v195
	v_fmac_f32_e32 v107, v108, v62
	v_fma_f32 v108, v16, v194, -v24
	v_mul_u32_u24_e32 v16, 0xcccd, v134
	v_lshrrev_b32_e32 v16, 19, v16
	v_fmac_f32_e32 v114, v17, v194
	v_mul_lo_u16_e32 v17, 10, v16
	v_sub_u16_e32 v17, v134, v17
	v_mul_lo_u16_e32 v24, 40, v17
	v_add_co_u32_e32 v24, vcc, s10, v24
	v_mul_f32_e32 v110, v78, v71
	v_fmac_f32_e32 v112, v25, v60
	v_addc_co_u32_e32 v25, vcc, 0, v155, vcc
	v_fmac_f32_e32 v110, v79, v70
	global_load_dwordx2 v[226:227], v[24:25], off offset:32
	global_load_dwordx4 v[72:75], v[24:25], off offset:16
	global_load_dwordx4 v[76:79], v[24:25], off
	s_waitcnt vmcnt(0)
	s_barrier
	v_cmp_gt_u16_e32 vcc, 60, v180
	v_mul_f32_e32 v123, v18, v227
	v_mul_f32_e32 v121, v12, v75
	;; [unrolled: 1-line block ×3, first 2 shown]
	v_fma_f32 v115, v30, v76, -v24
	v_mul_f32_e32 v116, v30, v77
	v_mul_f32_e32 v24, v21, v79
	v_fmac_f32_e32 v116, v31, v76
	v_fma_f32 v31, v20, v78, -v24
	v_mul_f32_e32 v117, v20, v79
	v_mul_f32_e32 v20, v27, v73
	v_fma_f32 v118, v26, v72, -v20
	v_mul_f32_e32 v20, v13, v75
	v_fma_f32 v120, v12, v74, -v20
	;; [unrolled: 2-line block ×3, first 2 shown]
	v_add_f32_e32 v12, v8, v84
	v_add_f32_e32 v20, v12, v87
	;; [unrolled: 1-line block ×3, first 2 shown]
	v_fmac_f32_e32 v117, v21, v78
	v_fma_f32 v21, -0.5, v12, v8
	v_sub_f32_e32 v8, v85, v90
	v_mov_b32_e32 v24, v21
	v_fmac_f32_e32 v24, 0x3f5db3d7, v8
	v_fmac_f32_e32 v21, 0xbf5db3d7, v8
	v_add_f32_e32 v8, v9, v85
	v_mul_f32_e32 v119, v26, v73
	v_add_f32_e32 v25, v8, v90
	v_add_f32_e32 v8, v85, v90
	v_fmac_f32_e32 v119, v27, v72
	v_fma_f32 v27, -0.5, v8, v9
	v_sub_f32_e32 v8, v84, v87
	v_mov_b32_e32 v29, v27
	v_fmac_f32_e32 v29, 0xbf5db3d7, v8
	v_fmac_f32_e32 v27, 0x3f5db3d7, v8
	v_add_f32_e32 v8, v35, v80
	v_add_f32_e32 v26, v8, v82
	;; [unrolled: 1-line block ×3, first 2 shown]
	v_fmac_f32_e32 v35, -0.5, v8
	v_fmac_f32_e32 v121, v13, v74
	v_sub_f32_e32 v8, v81, v83
	v_mov_b32_e32 v13, v35
	v_fmac_f32_e32 v13, 0x3f5db3d7, v8
	v_fmac_f32_e32 v35, 0xbf5db3d7, v8
	v_add_f32_e32 v8, v37, v81
	v_add_f32_e32 v30, v8, v83
	;; [unrolled: 1-line block ×3, first 2 shown]
	v_fmac_f32_e32 v37, -0.5, v8
	v_fmac_f32_e32 v123, v19, v226
	v_sub_f32_e32 v8, v80, v82
	v_mov_b32_e32 v19, v37
	v_fmac_f32_e32 v19, 0xbf5db3d7, v8
	v_fmac_f32_e32 v37, 0x3f5db3d7, v8
	v_mul_f32_e32 v81, -0.5, v35
	v_mul_f32_e32 v82, 0xbf5db3d7, v13
	v_mul_f32_e32 v80, 0x3f5db3d7, v19
	v_fmac_f32_e32 v81, 0x3f5db3d7, v37
	v_fmac_f32_e32 v82, 0.5, v19
	v_add_f32_e32 v8, v20, v26
	v_fmac_f32_e32 v80, 0.5, v13
	v_add_f32_e32 v18, v21, v81
	v_add_f32_e32 v9, v25, v30
	;; [unrolled: 1-line block ×3, first 2 shown]
	v_mul_f32_e32 v37, -0.5, v37
	v_sub_f32_e32 v20, v20, v26
	v_sub_f32_e32 v26, v21, v81
	;; [unrolled: 1-line block ×4, first 2 shown]
	v_add_f32_e32 v29, v10, v94
	v_fmac_f32_e32 v37, 0xbf5db3d7, v35
	v_add_f32_e32 v35, v29, v96
	v_add_f32_e32 v29, v94, v96
	v_fma_f32 v10, -0.5, v29, v10
	v_sub_f32_e32 v29, v95, v97
	v_mov_b32_e32 v83, v10
	v_fmac_f32_e32 v83, 0x3f5db3d7, v29
	v_fmac_f32_e32 v10, 0xbf5db3d7, v29
	v_add_f32_e32 v29, v11, v95
	v_add_f32_e32 v85, v29, v97
	v_add_f32_e32 v29, v95, v97
	v_fmac_f32_e32 v11, -0.5, v29
	v_sub_f32_e32 v29, v94, v96
	v_mov_b32_e32 v87, v11
	v_fmac_f32_e32 v87, 0xbf5db3d7, v29
	v_fmac_f32_e32 v11, 0x3f5db3d7, v29
	v_add_f32_e32 v29, v38, v86
	v_add_f32_e32 v82, v29, v92
	v_add_f32_e32 v29, v86, v92
	v_fmac_f32_e32 v38, -0.5, v29
	;; [unrolled: 8-line block ×3, first 2 shown]
	v_sub_f32_e32 v29, v86, v92
	v_mov_b32_e32 v84, v39
	v_fmac_f32_e32 v39, 0x3f5db3d7, v29
	v_mul_f32_e32 v88, -0.5, v38
	v_fmac_f32_e32 v88, 0x3f5db3d7, v39
	v_mul_f32_e32 v39, -0.5, v39
	v_fmac_f32_e32 v84, 0xbf5db3d7, v29
	v_fmac_f32_e32 v39, 0xbf5db3d7, v38
	v_mul_f32_e32 v86, 0x3f5db3d7, v84
	v_mul_f32_e32 v92, 0xbf5db3d7, v81
	v_add_f32_e32 v38, v11, v39
	v_sub_f32_e32 v11, v11, v39
	v_add_f32_e32 v39, v103, v109
	v_fmac_f32_e32 v86, 0.5, v81
	v_fmac_f32_e32 v92, 0.5, v84
	v_fma_f32 v39, -0.5, v39, v4
	v_add_f32_e32 v12, v24, v80
	v_sub_f32_e32 v24, v24, v80
	v_add_f32_e32 v29, v35, v82
	v_add_f32_e32 v80, v83, v86
	;; [unrolled: 1-line block ×4, first 2 shown]
	v_sub_f32_e32 v82, v35, v82
	v_sub_f32_e32 v84, v83, v86
	;; [unrolled: 1-line block ×4, first 2 shown]
	v_add_f32_e32 v35, v4, v103
	v_sub_f32_e32 v4, v104, v105
	v_mov_b32_e32 v92, v39
	v_fmac_f32_e32 v92, 0x3f5db3d7, v4
	v_fmac_f32_e32 v39, 0xbf5db3d7, v4
	v_add_f32_e32 v4, v5, v104
	v_add_f32_e32 v93, v4, v105
	;; [unrolled: 1-line block ×3, first 2 shown]
	v_fma_f32 v95, -0.5, v4, v5
	v_sub_f32_e32 v4, v103, v109
	v_mov_b32_e32 v96, v95
	v_fmac_f32_e32 v96, 0xbf5db3d7, v4
	v_fmac_f32_e32 v95, 0x3f5db3d7, v4
	v_add_f32_e32 v4, v89, v98
	v_add_f32_e32 v90, v4, v100
	;; [unrolled: 1-line block ×3, first 2 shown]
	v_fmac_f32_e32 v89, -0.5, v4
	v_sub_f32_e32 v4, v99, v102
	v_mov_b32_e32 v87, v89
	v_fmac_f32_e32 v87, 0x3f5db3d7, v4
	v_fmac_f32_e32 v89, 0xbf5db3d7, v4
	v_add_f32_e32 v4, v91, v99
	v_add_f32_e32 v97, v4, v102
	;; [unrolled: 1-line block ×3, first 2 shown]
	v_fmac_f32_e32 v91, -0.5, v4
	v_sub_f32_e32 v4, v98, v100
	v_mov_b32_e32 v94, v91
	v_fmac_f32_e32 v91, 0x3f5db3d7, v4
	v_mul_f32_e32 v99, -0.5, v89
	v_fmac_f32_e32 v94, 0xbf5db3d7, v4
	v_fmac_f32_e32 v99, 0x3f5db3d7, v91
	v_mul_f32_e32 v100, 0xbf5db3d7, v87
	v_add_f32_e32 v19, v27, v37
	v_sub_f32_e32 v27, v27, v37
	v_add_f32_e32 v37, v10, v88
	v_sub_f32_e32 v10, v10, v88
	v_add_f32_e32 v35, v35, v109
	v_mul_f32_e32 v98, 0x3f5db3d7, v94
	v_add_f32_e32 v88, v39, v99
	v_fmac_f32_e32 v100, 0.5, v94
	v_sub_f32_e32 v94, v39, v99
	v_add_f32_e32 v39, v106, v113
	v_add_f32_e32 v4, v35, v90
	v_sub_f32_e32 v90, v35, v90
	v_add_f32_e32 v35, v6, v106
	v_fma_f32 v6, -0.5, v39, v6
	v_fmac_f32_e32 v98, 0.5, v87
	v_add_f32_e32 v5, v93, v97
	v_add_f32_e32 v87, v96, v100
	v_mul_f32_e32 v102, -0.5, v91
	v_sub_f32_e32 v91, v93, v97
	v_sub_f32_e32 v93, v96, v100
	;; [unrolled: 1-line block ×3, first 2 shown]
	v_mov_b32_e32 v103, v6
	v_add_f32_e32 v96, v110, v107
	v_fmac_f32_e32 v103, 0x3f5db3d7, v39
	v_fmac_f32_e32 v6, 0xbf5db3d7, v39
	v_add_f32_e32 v39, v7, v110
	v_fmac_f32_e32 v7, -0.5, v96
	v_sub_f32_e32 v96, v106, v113
	v_mov_b32_e32 v105, v7
	v_fmac_f32_e32 v102, 0xbf5db3d7, v89
	v_fmac_f32_e32 v105, 0xbf5db3d7, v96
	;; [unrolled: 1-line block ×3, first 2 shown]
	v_add_f32_e32 v96, v101, v111
	v_add_f32_e32 v89, v95, v102
	v_sub_f32_e32 v95, v95, v102
	v_add_f32_e32 v102, v96, v108
	v_add_f32_e32 v96, v111, v108
	v_fmac_f32_e32 v101, -0.5, v96
	v_sub_f32_e32 v96, v112, v114
	v_mov_b32_e32 v99, v101
	v_fmac_f32_e32 v99, 0x3f5db3d7, v96
	v_fmac_f32_e32 v101, 0xbf5db3d7, v96
	v_add_f32_e32 v96, v28, v112
	v_add_f32_e32 v106, v96, v114
	;; [unrolled: 1-line block ×3, first 2 shown]
	v_fmac_f32_e32 v28, -0.5, v96
	v_sub_f32_e32 v96, v111, v108
	v_mov_b32_e32 v104, v28
	v_fmac_f32_e32 v28, 0x3f5db3d7, v96
	v_mul_f32_e32 v108, -0.5, v101
	v_add_f32_e32 v35, v35, v113
	v_fmac_f32_e32 v104, 0xbf5db3d7, v96
	v_fmac_f32_e32 v108, 0x3f5db3d7, v28
	v_mul_f32_e32 v28, -0.5, v28
	v_add_f32_e32 v39, v39, v107
	v_add_f32_e32 v96, v35, v102
	v_mul_f32_e32 v107, 0x3f5db3d7, v104
	v_fmac_f32_e32 v28, 0xbf5db3d7, v101
	v_sub_f32_e32 v102, v35, v102
	v_add_f32_e32 v35, v31, v120
	v_fmac_f32_e32 v107, 0.5, v99
	v_mul_f32_e32 v109, 0xbf5db3d7, v99
	v_add_f32_e32 v101, v7, v28
	v_sub_f32_e32 v7, v7, v28
	v_add_f32_e32 v28, v0, v31
	v_fma_f32 v0, -0.5, v35, v0
	v_add_f32_e32 v86, v92, v98
	v_sub_f32_e32 v92, v92, v98
	v_add_f32_e32 v98, v103, v107
	v_add_f32_e32 v97, v39, v106
	v_fmac_f32_e32 v109, 0.5, v104
	v_sub_f32_e32 v104, v103, v107
	v_sub_f32_e32 v103, v39, v106
	;; [unrolled: 1-line block ×3, first 2 shown]
	v_mov_b32_e32 v39, v0
	v_add_f32_e32 v106, v117, v121
	v_fmac_f32_e32 v39, 0x3f5db3d7, v35
	v_fmac_f32_e32 v0, 0xbf5db3d7, v35
	v_add_f32_e32 v35, v1, v117
	v_fmac_f32_e32 v1, -0.5, v106
	v_sub_f32_e32 v31, v31, v120
	v_mov_b32_e32 v117, v1
	v_add_f32_e32 v106, v118, v122
	v_fmac_f32_e32 v117, 0xbf5db3d7, v31
	v_fmac_f32_e32 v1, 0x3f5db3d7, v31
	v_add_f32_e32 v31, v115, v118
	v_fmac_f32_e32 v115, -0.5, v106
	v_add_f32_e32 v99, v105, v109
	v_sub_f32_e32 v105, v105, v109
	v_sub_f32_e32 v106, v119, v123
	v_mov_b32_e32 v109, v115
	v_fmac_f32_e32 v109, 0x3f5db3d7, v106
	v_fmac_f32_e32 v115, 0xbf5db3d7, v106
	v_add_f32_e32 v106, v116, v119
	v_add_f32_e32 v113, v106, v123
	v_add_f32_e32 v106, v119, v123
	v_fmac_f32_e32 v116, -0.5, v106
	v_add_f32_e32 v28, v28, v120
	v_add_f32_e32 v31, v31, v122
	v_sub_f32_e32 v106, v118, v122
	v_mov_b32_e32 v111, v116
	v_fmac_f32_e32 v111, 0xbf5db3d7, v106
	v_fmac_f32_e32 v116, 0x3f5db3d7, v106
	v_add_f32_e32 v106, v28, v31
	v_sub_f32_e32 v112, v28, v31
	v_mul_u32_u24_e32 v28, 60, v33
	v_add_lshl_u32 v28, v28, v34, 3
	buffer_store_dword v28, off, s[24:27], 0 offset:404 ; 4-byte Folded Spill
	ds_write2_b64 v28, v[8:9], v[12:13] offset1:10
	ds_write2_b64 v28, v[18:19], v[20:21] offset0:20 offset1:30
	ds_write2_b64 v28, v[24:25], v[26:27] offset0:40 offset1:50
	buffer_store_dword v2, off, s[24:27], 0 offset:400 ; 4-byte Folded Spill
	ds_write2_b64 v2, v[29:30], v[80:81] offset1:10
	ds_write2_b64 v2, v[37:38], v[82:83] offset0:20 offset1:30
	ds_write2_b64 v2, v[84:85], v[10:11] offset0:40 offset1:50
	v_mad_legacy_u16 v2, v14, 60, v15
	v_lshlrev_b32_e32 v2, 3, v2
	buffer_store_dword v2, off, s[24:27], 0 offset:388 ; 4-byte Folded Spill
	ds_write2_b64 v2, v[4:5], v[86:87] offset1:10
	ds_write2_b64 v2, v[88:89], v[90:91] offset0:20 offset1:30
	ds_write2_b64 v2, v[92:93], v[94:95] offset0:40 offset1:50
	v_mad_legacy_u16 v2, v22, 60, v23
	v_mul_f32_e32 v114, 0x3f5db3d7, v111
	v_mul_f32_e32 v118, -0.5, v115
	v_mul_f32_e32 v119, 0xbf5db3d7, v109
	v_lshlrev_b32_e32 v2, 3, v2
	v_add_f32_e32 v100, v6, v108
	v_sub_f32_e32 v6, v6, v108
	v_add_f32_e32 v35, v35, v121
	v_fmac_f32_e32 v114, 0.5, v109
	v_fmac_f32_e32 v118, 0x3f5db3d7, v116
	v_fmac_f32_e32 v119, 0.5, v111
	v_mul_f32_e32 v116, -0.5, v116
	buffer_store_dword v2, off, s[24:27], 0 offset:348 ; 4-byte Folded Spill
	ds_write2_b64 v2, v[96:97], v[98:99] offset1:10
	ds_write2_b64 v2, v[100:101], v[102:103] offset0:20 offset1:30
	ds_write2_b64 v2, v[104:105], v[6:7] offset0:40 offset1:50
	v_mad_legacy_u16 v2, v16, 60, v17
	v_add_f32_e32 v108, v39, v114
	v_add_f32_e32 v110, v0, v118
	v_add_f32_e32 v107, v35, v113
	v_add_f32_e32 v109, v117, v119
	v_fmac_f32_e32 v116, 0xbf5db3d7, v115
	v_sub_f32_e32 v0, v0, v118
	v_lshlrev_b32_e32 v2, 3, v2
	v_add_f32_e32 v111, v1, v116
	v_sub_f32_e32 v114, v39, v114
	v_sub_f32_e32 v113, v35, v113
	;; [unrolled: 1-line block ×4, first 2 shown]
	buffer_store_dword v2, off, s[24:27], 0 offset:300 ; 4-byte Folded Spill
	ds_write2_b64 v2, v[106:107], v[108:109] offset1:10
	ds_write2_b64 v2, v[110:111], v[112:113] offset0:20 offset1:30
	ds_write2_b64 v2, v[114:115], v[0:1] offset0:40 offset1:50
	v_subrev_u32_e32 v0, 60, v180
	v_cndmask_b32_e32 v165, v0, v180, vcc
	v_mul_i32_i24_e32 v1, 40, v165
	v_mul_hi_i32_i24_e32 v0, 40, v165
	v_add_co_u32_e32 v4, vcc, s10, v1
	v_addc_co_u32_e32 v5, vcc, v155, v0, vcc
	s_waitcnt vmcnt(0) lgkmcnt(0)
	s_barrier
	ds_read2_b64 v[88:91], v167 offset1:96
	ds_read2_b64 v[80:83], v142 offset0:128 offset1:224
	ds_read2_b64 v[8:11], v202 offset0:64 offset1:160
	;; [unrolled: 1-line block ×4, first 2 shown]
	ds_read2_b64 v[96:99], v140 offset1:96
	ds_read2_b64 v[16:19], v209 offset0:64 offset1:160
	ds_read2_b64 v[24:27], v141 offset1:96
	ds_read2_b64 v[28:31], v211 offset0:64 offset1:160
	ds_read2_b64 v[84:87], v213 offset0:64 offset1:160
	;; [unrolled: 1-line block ×4, first 2 shown]
	ds_read2_b64 v[108:111], v144 offset1:96
	ds_read2_b64 v[100:103], v208 offset0:64 offset1:160
	ds_read2_b64 v[92:95], v143 offset0:128 offset1:224
	global_load_dwordx2 v[21:22], v[4:5], off offset:432
	global_load_dwordx4 v[190:193], v[4:5], off offset:416
	s_nop 0
	global_load_dwordx4 v[4:7], v[4:5], off offset:400
	s_waitcnt vmcnt(2)
	buffer_store_dword v21, off, s[24:27], 0 offset:304 ; 4-byte Folded Spill
	s_nop 0
	buffer_store_dword v22, off, s[24:27], 0 offset:308 ; 4-byte Folded Spill
	s_waitcnt vmcnt(3) lgkmcnt(10)
	v_mul_f32_e32 v125, v12, v193
	s_waitcnt vmcnt(2)
	v_mul_f32_e32 v20, v83, v5
	v_fma_f32 v112, v82, v4, -v20
	v_mul_f32_e32 v20, v9, v7
	v_fma_f32 v122, v8, v6, -v20
	v_mul_f32_e32 v124, v8, v7
	v_mul_f32_e32 v8, v107, v191
	v_fma_f32 v113, v106, v190, -v8
	v_mul_f32_e32 v8, v13, v193
	v_mul_f32_e32 v106, v106, v191
	v_fma_f32 v123, v12, v192, -v8
	v_fmac_f32_e32 v106, v107, v190
	v_fmac_f32_e32 v124, v9, v6
	;; [unrolled: 1-line block ×3, first 2 shown]
	v_mul_f32_e32 v82, v82, v5
	v_fmac_f32_e32 v82, v83, v4
	v_mov_b32_e32 v2, v212
	s_waitcnt lgkmcnt(9)
	v_mul_f32_e32 v8, v99, v22
	v_fma_f32 v107, v98, v21, -v8
	v_mul_lo_u16_sdwa v8, v32, s4 dst_sel:DWORD dst_unused:UNUSED_PAD src0_sel:BYTE_0 src1_sel:DWORD
	v_lshrrev_b16_e32 v163, 13, v8
	v_mul_lo_u16_e32 v8, 60, v163
	v_sub_u16_e32 v8, v32, v8
	v_and_b32_e32 v164, 0xff, v8
	v_mad_u64_u32 v[8:9], s[4:5], v164, 40, s[10:11]
	v_mul_f32_e32 v115, v98, v22
	v_fmac_f32_e32 v115, v99, v21
	global_load_dwordx2 v[12:13], v[8:9], off offset:432
	global_load_dwordx4 v[20:23], v[8:9], off offset:416
	global_load_dwordx4 v[32:35], v[8:9], off offset:400
	s_waitcnt vmcnt(2)
	buffer_store_dword v12, off, s[24:27], 0 offset:284 ; 4-byte Folded Spill
	s_nop 0
	buffer_store_dword v13, off, s[24:27], 0 offset:288 ; 4-byte Folded Spill
	s_mov_b32 s4, 0x8889
	s_waitcnt vmcnt(2) lgkmcnt(8)
	v_mul_f32_e32 v8, v17, v33
	v_fma_f32 v83, v16, v32, -v8
	v_mul_f32_e32 v8, v11, v35
	v_fma_f32 v118, v10, v34, -v8
	s_waitcnt lgkmcnt(7)
	v_mul_f32_e32 v8, v25, v21
	v_fma_f32 v99, v24, v20, -v8
	v_mul_f32_e32 v8, v15, v23
	v_fma_f32 v120, v14, v22, -v8
	v_mul_f32_e32 v119, v10, v35
	v_mul_f32_e32 v114, v24, v21
	;; [unrolled: 1-line block ×3, first 2 shown]
	v_fmac_f32_e32 v119, v11, v34
	v_fmac_f32_e32 v114, v25, v20
	;; [unrolled: 1-line block ×3, first 2 shown]
	v_mul_f32_e32 v98, v16, v33
	v_fmac_f32_e32 v98, v17, v32
	s_waitcnt lgkmcnt(6)
	v_mul_f32_e32 v8, v29, v13
	v_fma_f32 v116, v28, v12, -v8
	v_mul_u32_u24_sdwa v8, v36, s4 dst_sel:DWORD dst_unused:UNUSED_PAD src0_sel:WORD_0 src1_sel:DWORD
	v_lshrrev_b32_e32 v158, 21, v8
	v_mul_lo_u16_e32 v8, 60, v158
	v_sub_u16_e32 v159, v36, v8
	v_mul_f32_e32 v117, v28, v13
	v_mul_lo_u16_e32 v8, 40, v159
	v_fmac_f32_e32 v117, v29, v12
	v_add_co_u32_e32 v12, vcc, s10, v8
	v_addc_co_u32_e32 v13, vcc, 0, v155, vcc
	global_load_dwordx2 v[24:25], v[12:13], off offset:432
	global_load_dwordx4 v[8:11], v[12:13], off offset:416
	s_nop 0
	global_load_dwordx4 v[12:15], v[12:13], off offset:400
	s_waitcnt vmcnt(2)
	buffer_store_dword v24, off, s[24:27], 0 offset:292 ; 4-byte Folded Spill
	s_nop 0
	buffer_store_dword v25, off, s[24:27], 0 offset:296 ; 4-byte Folded Spill
	s_waitcnt vmcnt(3)
	v_mul_f32_e32 v170, v26, v9
	s_waitcnt vmcnt(2)
	v_mul_f32_e32 v16, v19, v13
	v_fma_f32 v166, v18, v12, -v16
	s_waitcnt lgkmcnt(4)
	v_mul_f32_e32 v16, v127, v15
	v_fma_f32 v174, v126, v14, -v16
	v_mul_f32_e32 v16, v27, v9
	v_fma_f32 v169, v26, v8, -v16
	s_waitcnt lgkmcnt(3)
	v_mul_f32_e32 v16, v131, v11
	v_fma_f32 v177, v130, v10, -v16
	v_mul_f32_e32 v168, v18, v13
	v_fmac_f32_e32 v168, v19, v12
	v_fmac_f32_e32 v170, v27, v8
	v_mul_f32_e32 v178, v130, v11
	v_fmac_f32_e32 v178, v131, v10
	v_mul_f32_e32 v176, v126, v15
	v_fmac_f32_e32 v176, v127, v14
	v_mul_f32_e32 v16, v31, v25
	v_fma_f32 v171, v30, v24, -v16
	v_mul_u32_u24_sdwa v16, v149, s4 dst_sel:DWORD dst_unused:UNUSED_PAD src0_sel:WORD_0 src1_sel:DWORD
	v_lshrrev_b32_e32 v156, 21, v16
	v_mul_lo_u16_e32 v16, 60, v156
	v_sub_u16_e32 v157, v149, v16
	v_mul_f32_e32 v173, v30, v25
	v_mul_lo_u16_e32 v16, 40, v157
	v_fmac_f32_e32 v173, v31, v24
	v_add_co_u32_e32 v24, vcc, s10, v16
	v_addc_co_u32_e32 v25, vcc, 0, v155, vcc
	global_load_dwordx2 v[29:30], v[24:25], off offset:432
	global_load_dwordx4 v[16:19], v[24:25], off offset:416
	s_nop 0
	global_load_dwordx4 v[24:27], v[24:25], off offset:400
	s_waitcnt vmcnt(2)
	buffer_store_dword v29, off, s[24:27], 0 offset:312 ; 4-byte Folded Spill
	s_nop 0
	buffer_store_dword v30, off, s[24:27], 0 offset:316 ; 4-byte Folded Spill
	buffer_store_dword v134, off, s[24:27], 0 offset:264 ; 4-byte Folded Spill
	s_waitcnt vmcnt(3) lgkmcnt(2)
	v_mul_f32_e32 v28, v109, v25
	v_fma_f32 v172, v108, v24, -v28
	v_mul_f32_e32 v28, v129, v27
	v_fma_f32 v182, v128, v26, -v28
	s_waitcnt lgkmcnt(1)
	v_mul_f32_e32 v28, v101, v17
	v_fma_f32 v179, v100, v16, -v28
	v_mul_f32_e32 v28, v133, v19
	v_mul_f32_e32 v100, v100, v17
	v_fma_f32 v184, v132, v18, -v28
	v_fmac_f32_e32 v100, v101, v16
	v_mul_f32_e32 v175, v108, v25
	v_fmac_f32_e32 v175, v109, v24
	v_mul_f32_e32 v183, v128, v27
	v_mul_f32_e32 v185, v132, v19
	v_fmac_f32_e32 v183, v129, v26
	v_fmac_f32_e32 v185, v133, v18
	s_movk_i32 s4, 0x168
	s_waitcnt lgkmcnt(0)
	v_mul_f32_e32 v28, v93, v30
	v_fma_f32 v101, v92, v29, -v28
	v_mul_u32_u24_e32 v28, 0x8889, v134
	v_lshrrev_b32_e32 v161, 21, v28
	v_mul_lo_u16_e32 v28, 60, v161
	v_sub_u16_e32 v162, v134, v28
	v_mul_lo_u16_e32 v28, 40, v162
	v_add_co_u32_e32 v36, vcc, s10, v28
	v_mul_f32_e32 v92, v92, v30
	v_addc_co_u32_e32 v37, vcc, 0, v155, vcc
	v_fmac_f32_e32 v92, v93, v29
	global_load_dwordx2 v[108:109], v[36:37], off offset:432
	global_load_dwordx4 v[28:31], v[36:37], off offset:416
	s_nop 0
	global_load_dwordx4 v[36:39], v[36:37], off offset:400
	s_waitcnt vmcnt(2)
	buffer_store_dword v108, off, s[24:27], 0 offset:392 ; 4-byte Folded Spill
	s_nop 0
	buffer_store_dword v109, off, s[24:27], 0 offset:396 ; 4-byte Folded Spill
	s_waitcnt vmcnt(3)
	v_mul_f32_e32 v189, v96, v31
	s_waitcnt vmcnt(2)
	v_mul_f32_e32 v93, v111, v37
	v_fma_f32 v186, v110, v36, -v93
	v_mul_f32_e32 v93, v105, v39
	v_fma_f32 v188, v104, v38, -v93
	v_mul_f32_e32 v104, v104, v39
	v_mul_f32_e32 v93, v103, v29
	v_fmac_f32_e32 v104, v105, v38
	v_fma_f32 v105, v102, v28, -v93
	v_mul_f32_e32 v102, v102, v29
	v_mul_f32_e32 v93, v97, v31
	v_fmac_f32_e32 v102, v103, v28
	v_fma_f32 v103, v96, v30, -v93
	v_add_f32_e32 v96, v124, v125
	v_fmac_f32_e32 v189, v97, v30
	v_mul_f32_e32 v187, v110, v37
	v_fmac_f32_e32 v187, v111, v36
	v_cmp_lt_u16_e32 vcc, 59, v180
	s_waitcnt vmcnt(0)
	s_barrier
	v_mul_f32_e32 v93, v95, v109
	v_fma_f32 v196, v94, v108, -v93
	v_mul_f32_e32 v197, v94, v109
	v_add_f32_e32 v94, v122, v123
	v_add_f32_e32 v93, v88, v122
	v_fma_f32 v88, -0.5, v94, v88
	v_fmac_f32_e32 v197, v95, v108
	v_sub_f32_e32 v94, v124, v125
	v_mov_b32_e32 v95, v88
	v_fmac_f32_e32 v95, 0x3f5db3d7, v94
	v_fmac_f32_e32 v88, 0xbf5db3d7, v94
	v_add_f32_e32 v94, v89, v124
	v_fma_f32 v89, -0.5, v96, v89
	v_sub_f32_e32 v96, v122, v123
	v_mov_b32_e32 v97, v89
	v_add_f32_e32 v108, v113, v107
	v_fmac_f32_e32 v97, 0xbf5db3d7, v96
	v_fmac_f32_e32 v89, 0x3f5db3d7, v96
	v_add_f32_e32 v96, v112, v113
	v_fmac_f32_e32 v112, -0.5, v108
	v_sub_f32_e32 v108, v106, v115
	v_mov_b32_e32 v109, v112
	v_fmac_f32_e32 v109, 0x3f5db3d7, v108
	v_fmac_f32_e32 v112, 0xbf5db3d7, v108
	v_add_f32_e32 v108, v82, v106
	v_add_f32_e32 v106, v106, v115
	v_fmac_f32_e32 v82, -0.5, v106
	v_sub_f32_e32 v106, v113, v107
	v_add_f32_e32 v96, v96, v107
	v_mov_b32_e32 v107, v82
	v_fmac_f32_e32 v82, 0x3f5db3d7, v106
	v_mul_f32_e32 v110, -0.5, v112
	v_fmac_f32_e32 v110, 0x3f5db3d7, v82
	v_add_f32_e32 v128, v88, v110
	v_mul_f32_e32 v82, -0.5, v82
	v_sub_f32_e32 v132, v88, v110
	v_add_f32_e32 v88, v118, v120
	v_add_f32_e32 v93, v93, v123
	v_fmac_f32_e32 v107, 0xbf5db3d7, v106
	v_fmac_f32_e32 v82, 0xbf5db3d7, v112
	v_fma_f32 v88, -0.5, v88, v90
	v_add_f32_e32 v134, v93, v96
	v_mul_f32_e32 v106, 0x3f5db3d7, v107
	v_add_f32_e32 v129, v89, v82
	v_sub_f32_e32 v136, v93, v96
	v_sub_f32_e32 v133, v89, v82
	v_add_f32_e32 v82, v90, v118
	v_sub_f32_e32 v89, v119, v121
	v_mov_b32_e32 v90, v88
	v_add_f32_e32 v93, v119, v121
	v_add_f32_e32 v94, v94, v125
	v_add_f32_e32 v108, v108, v115
	v_fmac_f32_e32 v106, 0.5, v109
	v_fmac_f32_e32 v90, 0x3f5db3d7, v89
	v_fmac_f32_e32 v88, 0xbf5db3d7, v89
	v_add_f32_e32 v89, v91, v119
	v_fmac_f32_e32 v91, -0.5, v93
	v_add_f32_e32 v138, v95, v106
	v_add_f32_e32 v135, v94, v108
	v_mul_f32_e32 v109, 0xbf5db3d7, v109
	v_sub_f32_e32 v130, v95, v106
	v_sub_f32_e32 v137, v94, v108
	;; [unrolled: 1-line block ×3, first 2 shown]
	v_mov_b32_e32 v94, v91
	v_add_f32_e32 v95, v99, v116
	v_fmac_f32_e32 v109, 0.5, v107
	v_fmac_f32_e32 v94, 0xbf5db3d7, v93
	v_fmac_f32_e32 v91, 0x3f5db3d7, v93
	v_add_f32_e32 v93, v83, v99
	v_fmac_f32_e32 v83, -0.5, v95
	v_add_f32_e32 v139, v97, v109
	v_sub_f32_e32 v131, v97, v109
	v_sub_f32_e32 v95, v114, v117
	v_mov_b32_e32 v96, v83
	v_add_f32_e32 v97, v114, v117
	v_fmac_f32_e32 v96, 0x3f5db3d7, v95
	v_fmac_f32_e32 v83, 0xbf5db3d7, v95
	v_add_f32_e32 v95, v98, v114
	v_fmac_f32_e32 v98, -0.5, v97
	v_sub_f32_e32 v97, v99, v116
	v_mov_b32_e32 v99, v98
	v_fmac_f32_e32 v98, 0x3f5db3d7, v97
	v_mul_f32_e32 v106, -0.5, v83
	v_fmac_f32_e32 v106, 0x3f5db3d7, v98
	v_mul_f32_e32 v98, -0.5, v98
	v_fmac_f32_e32 v98, 0xbf5db3d7, v83
	v_add_f32_e32 v83, v174, v177
	v_add_f32_e32 v82, v82, v120
	v_add_f32_e32 v93, v93, v116
	v_fma_f32 v83, -0.5, v83, v84
	v_add_f32_e32 v124, v82, v93
	v_add_f32_e32 v120, v88, v106
	v_sub_f32_e32 v122, v82, v93
	v_sub_f32_e32 v118, v88, v106
	v_add_f32_e32 v82, v84, v174
	v_sub_f32_e32 v84, v176, v178
	v_mov_b32_e32 v88, v83
	v_add_f32_e32 v89, v89, v121
	v_add_f32_e32 v95, v95, v117
	v_fmac_f32_e32 v99, 0xbf5db3d7, v97
	v_fmac_f32_e32 v88, 0x3f5db3d7, v84
	;; [unrolled: 1-line block ×3, first 2 shown]
	v_add_f32_e32 v84, v85, v176
	v_mul_f32_e32 v97, 0x3f5db3d7, v99
	v_add_f32_e32 v125, v89, v95
	v_sub_f32_e32 v123, v89, v95
	v_add_f32_e32 v89, v84, v178
	v_add_f32_e32 v84, v176, v178
	v_fmac_f32_e32 v97, 0.5, v96
	v_fma_f32 v85, -0.5, v84, v85
	v_add_f32_e32 v126, v90, v97
	v_mul_f32_e32 v96, 0xbf5db3d7, v96
	v_add_f32_e32 v121, v91, v98
	v_sub_f32_e32 v116, v90, v97
	v_sub_f32_e32 v119, v91, v98
	;; [unrolled: 1-line block ×3, first 2 shown]
	v_mov_b32_e32 v90, v85
	v_add_f32_e32 v91, v169, v171
	v_fmac_f32_e32 v96, 0.5, v99
	v_fmac_f32_e32 v90, 0xbf5db3d7, v84
	v_fmac_f32_e32 v85, 0x3f5db3d7, v84
	v_add_f32_e32 v84, v166, v169
	v_fmac_f32_e32 v166, -0.5, v91
	v_add_f32_e32 v127, v94, v96
	v_sub_f32_e32 v117, v94, v96
	v_sub_f32_e32 v91, v170, v173
	v_mov_b32_e32 v93, v166
	v_add_f32_e32 v94, v170, v173
	v_fmac_f32_e32 v93, 0x3f5db3d7, v91
	v_fmac_f32_e32 v166, 0xbf5db3d7, v91
	v_add_f32_e32 v91, v168, v170
	v_fmac_f32_e32 v168, -0.5, v94
	v_sub_f32_e32 v94, v169, v171
	v_mov_b32_e32 v95, v168
	v_fmac_f32_e32 v95, 0xbf5db3d7, v94
	v_fmac_f32_e32 v168, 0x3f5db3d7, v94
	v_mul_f32_e32 v94, 0x3f5db3d7, v95
	v_add_f32_e32 v82, v82, v177
	v_add_f32_e32 v84, v84, v171
	v_fmac_f32_e32 v94, 0.5, v93
	v_add_f32_e32 v112, v82, v84
	v_add_f32_e32 v114, v88, v94
	v_mul_f32_e32 v93, 0xbf5db3d7, v93
	v_sub_f32_e32 v110, v82, v84
	v_sub_f32_e32 v82, v88, v94
	v_add_f32_e32 v88, v86, v182
	v_fmac_f32_e32 v93, 0.5, v95
	v_mul_f32_e32 v95, -0.5, v168
	v_add_f32_e32 v94, v88, v184
	v_add_f32_e32 v88, v182, v184
	v_fmac_f32_e32 v95, 0xbf5db3d7, v166
	v_fma_f32 v86, -0.5, v88, v86
	v_add_f32_e32 v109, v85, v95
	v_sub_f32_e32 v85, v85, v95
	v_sub_f32_e32 v88, v183, v185
	v_mov_b32_e32 v95, v86
	v_fmac_f32_e32 v95, 0x3f5db3d7, v88
	v_fmac_f32_e32 v86, 0xbf5db3d7, v88
	v_add_f32_e32 v88, v87, v183
	v_add_f32_e32 v97, v88, v185
	v_add_f32_e32 v88, v183, v185
	v_fmac_f32_e32 v87, -0.5, v88
	v_mul_f32_e32 v96, -0.5, v166
	v_sub_f32_e32 v88, v182, v184
	v_mov_b32_e32 v98, v87
	v_fmac_f32_e32 v96, 0x3f5db3d7, v168
	v_fmac_f32_e32 v98, 0xbf5db3d7, v88
	;; [unrolled: 1-line block ×3, first 2 shown]
	v_add_f32_e32 v88, v172, v179
	v_add_f32_e32 v108, v83, v96
	v_sub_f32_e32 v84, v83, v96
	v_add_f32_e32 v96, v88, v101
	v_add_f32_e32 v88, v179, v101
	;; [unrolled: 1-line block ×3, first 2 shown]
	v_fmac_f32_e32 v172, -0.5, v88
	v_add_f32_e32 v113, v89, v91
	v_sub_f32_e32 v111, v89, v91
	v_sub_f32_e32 v88, v100, v92
	v_mov_b32_e32 v91, v172
	v_fmac_f32_e32 v91, 0x3f5db3d7, v88
	v_fmac_f32_e32 v172, 0xbf5db3d7, v88
	v_add_f32_e32 v88, v175, v100
	v_add_f32_e32 v99, v88, v92
	;; [unrolled: 1-line block ×3, first 2 shown]
	v_fmac_f32_e32 v175, -0.5, v88
	v_add_f32_e32 v115, v90, v93
	v_sub_f32_e32 v83, v90, v93
	v_sub_f32_e32 v88, v179, v101
	v_mov_b32_e32 v93, v175
	v_fmac_f32_e32 v93, 0xbf5db3d7, v88
	v_mul_f32_e32 v100, 0x3f5db3d7, v93
	v_mul_f32_e32 v106, 0xbf5db3d7, v91
	v_fmac_f32_e32 v100, 0.5, v91
	v_fmac_f32_e32 v106, 0.5, v93
	v_fmac_f32_e32 v175, 0x3f5db3d7, v88
	v_add_f32_e32 v88, v94, v96
	v_add_f32_e32 v92, v95, v100
	;; [unrolled: 1-line block ×3, first 2 shown]
	v_sub_f32_e32 v96, v94, v96
	v_sub_f32_e32 v94, v95, v100
	;; [unrolled: 1-line block ×3, first 2 shown]
	v_add_f32_e32 v98, v80, v188
	v_mul_f32_e32 v107, -0.5, v175
	v_add_f32_e32 v106, v98, v103
	v_add_f32_e32 v98, v188, v103
	v_fmac_f32_e32 v107, 0xbf5db3d7, v172
	v_fma_f32 v80, -0.5, v98, v80
	v_add_f32_e32 v91, v87, v107
	v_sub_f32_e32 v87, v87, v107
	v_sub_f32_e32 v98, v104, v189
	v_mov_b32_e32 v107, v80
	v_fmac_f32_e32 v107, 0x3f5db3d7, v98
	v_fmac_f32_e32 v80, 0xbf5db3d7, v98
	v_add_f32_e32 v98, v81, v104
	v_add_f32_e32 v166, v98, v189
	;; [unrolled: 1-line block ×3, first 2 shown]
	v_fmac_f32_e32 v81, -0.5, v98
	v_sub_f32_e32 v98, v188, v103
	v_mov_b32_e32 v168, v81
	v_fmac_f32_e32 v168, 0xbf5db3d7, v98
	v_fmac_f32_e32 v81, 0x3f5db3d7, v98
	v_add_f32_e32 v98, v186, v105
	v_mul_f32_e32 v101, -0.5, v172
	v_add_f32_e32 v104, v98, v196
	v_add_f32_e32 v98, v105, v196
	v_fmac_f32_e32 v101, 0x3f5db3d7, v175
	v_fmac_f32_e32 v186, -0.5, v98
	v_add_f32_e32 v90, v86, v101
	v_sub_f32_e32 v86, v86, v101
	v_sub_f32_e32 v98, v102, v197
	v_mov_b32_e32 v101, v186
	v_fmac_f32_e32 v101, 0x3f5db3d7, v98
	v_fmac_f32_e32 v186, 0xbf5db3d7, v98
	v_add_f32_e32 v98, v187, v102
	v_add_f32_e32 v169, v98, v197
	;; [unrolled: 1-line block ×3, first 2 shown]
	v_fmac_f32_e32 v187, -0.5, v98
	v_sub_f32_e32 v98, v105, v196
	v_mov_b32_e32 v103, v187
	v_fmac_f32_e32 v103, 0xbf5db3d7, v98
	v_mul_f32_e32 v105, 0x3f5db3d7, v103
	v_fmac_f32_e32 v105, 0.5, v101
	v_add_f32_e32 v89, v97, v99
	v_sub_f32_e32 v97, v97, v99
	v_fmac_f32_e32 v187, 0x3f5db3d7, v98
	v_add_f32_e32 v98, v106, v104
	v_add_f32_e32 v102, v107, v105
	;; [unrolled: 1-line block ×3, first 2 shown]
	v_sub_f32_e32 v106, v106, v104
	v_sub_f32_e32 v104, v107, v105
	;; [unrolled: 1-line block ×3, first 2 shown]
	v_mov_b32_e32 v166, 0x168
	v_cndmask_b32_e32 v166, 0, v166, vcc
	v_add_lshl_u32 v165, v165, v166, 3
	ds_write2_b64 v165, v[128:129], v[136:137] offset0:120 offset1:180
	v_add_u32_e32 v128, 0x400, v165
	buffer_store_dword v128, off, s[24:27], 0 offset:320 ; 4-byte Folded Spill
	ds_write2_b64 v128, v[130:131], v[132:133] offset0:112 offset1:172
	v_mul_u32_u24_e32 v128, 0x168, v163
	v_add_lshl_u32 v128, v128, v164, 3
	ds_write2_b64 v165, v[134:135], v[138:139] offset1:60
	ds_write2_b64 v128, v[120:121], v[122:123] offset0:120 offset1:180
	v_add_u32_e32 v120, 0x400, v128
	ds_write2_b64 v120, v[116:117], v[118:119] offset0:112 offset1:172
	v_mad_legacy_u16 v116, v158, s4, v159
	v_lshlrev_b32_e32 v116, 3, v116
	buffer_store_dword v165, off, s[24:27], 0 offset:352 ; 4-byte Folded Spill
	ds_write2_b64 v128, v[124:125], v[126:127] offset1:60
	buffer_store_dword v128, off, s[24:27], 0 offset:280 ; 4-byte Folded Spill
	buffer_store_dword v120, off, s[24:27], 0 offset:276 ; 4-byte Folded Spill
	ds_write2_b64 v116, v[112:113], v[114:115] offset1:60
	ds_write2_b64 v116, v[108:109], v[110:111] offset0:120 offset1:180
	v_add_u32_e32 v108, 0x400, v116
	ds_write2_b64 v108, v[82:83], v[84:85] offset0:112 offset1:172
	v_mad_legacy_u16 v82, v156, s4, v157
	v_lshlrev_b32_e32 v82, 3, v82
	v_mul_f32_e32 v170, -0.5, v186
	v_mul_f32_e32 v171, 0xbf5db3d7, v101
	v_mul_f32_e32 v172, -0.5, v187
	buffer_store_dword v116, off, s[24:27], 0 offset:336 ; 4-byte Folded Spill
	buffer_store_dword v108, off, s[24:27], 0 offset:324 ; 4-byte Folded Spill
	;; [unrolled: 1-line block ×3, first 2 shown]
	ds_write2_b64 v82, v[88:89], v[92:93] offset1:60
	ds_write2_b64 v82, v[90:91], v[96:97] offset0:120 offset1:180
	v_add_u32_e32 v83, 0x400, v82
	v_mad_legacy_u16 v82, v161, s4, v162
	v_fmac_f32_e32 v170, 0x3f5db3d7, v187
	v_fmac_f32_e32 v171, 0.5, v103
	v_fmac_f32_e32 v172, 0xbf5db3d7, v186
	v_lshlrev_b32_e32 v82, 3, v82
	v_add_f32_e32 v100, v80, v170
	v_add_f32_e32 v103, v168, v171
	;; [unrolled: 1-line block ×3, first 2 shown]
	v_sub_f32_e32 v80, v80, v170
	v_sub_f32_e32 v105, v168, v171
	;; [unrolled: 1-line block ×3, first 2 shown]
	buffer_store_dword v83, off, s[24:27], 0 offset:328 ; 4-byte Folded Spill
	ds_write2_b64 v83, v[94:95], v[86:87] offset0:112 offset1:172
	v_add_u32_e32 v83, 0x400, v82
	buffer_store_dword v82, off, s[24:27], 0 offset:344 ; 4-byte Folded Spill
	ds_write2_b64 v82, v[98:99], v[102:103] offset1:60
	ds_write2_b64 v82, v[100:101], v[106:107] offset0:120 offset1:180
	buffer_store_dword v83, off, s[24:27], 0 offset:332 ; 4-byte Folded Spill
	ds_write2_b64 v83, v[104:105], v[80:81] offset0:112 offset1:172
	s_waitcnt vmcnt(0) lgkmcnt(0)
	s_barrier
	ds_read2_b64 v[110:113], v167 offset1:96
	ds_read2_b64 v[80:83], v181 offset0:64 offset1:160
	ds_read2_b64 v[114:117], v141 offset1:96
	ds_read2_b64 v[104:107], v213 offset0:64 offset1:160
	ds_read2_b64 v[118:121], v208 offset0:64 offset1:160
	;; [unrolled: 1-line block ×6, first 2 shown]
	ds_read2_b64 v[92:95], v144 offset1:96
	ds_read2_b64 v[130:133], v140 offset1:96
	ds_read2_b64 v[88:91], v202 offset0:64 offset1:160
	ds_read2_b64 v[134:137], v211 offset0:64 offset1:160
	;; [unrolled: 1-line block ×4, first 2 shown]
	global_load_dwordx2 v[161:162], v167, s[10:11] offset:2800
	s_waitcnt vmcnt(0)
	buffer_store_dword v161, off, s[24:27], 0 offset:364 ; 4-byte Folded Spill
	s_nop 0
	buffer_store_dword v162, off, s[24:27], 0 offset:368 ; 4-byte Folded Spill
	global_load_dwordx2 v[163:164], v167, s[10:11] offset:3568
	s_waitcnt vmcnt(0)
	buffer_store_dword v163, off, s[24:27], 0 offset:356 ; 4-byte Folded Spill
	s_nop 0
	buffer_store_dword v164, off, s[24:27], 0 offset:360 ; 4-byte Folded Spill
	v_add_co_u32_e32 v108, vcc, s10, v167
	s_waitcnt lgkmcnt(13)
	v_mul_f32_e32 v138, v83, v162
	v_addc_co_u32_e32 v109, vcc, 0, v155, vcc
	v_fma_f32 v138, v82, v161, -v138
	v_mul_f32_e32 v139, v82, v162
	v_fmac_f32_e32 v139, v83, v161
	s_movk_i32 s4, 0xffb8
	s_waitcnt lgkmcnt(12)
	v_mul_f32_e32 v82, v115, v164
	v_fma_f32 v161, v114, v163, -v82
	v_add_co_u32_e32 v82, vcc, s6, v108
	v_addc_co_u32_e32 v83, vcc, 0, v109, vcc
	global_load_dwordx2 v[165:166], v[82:83], off offset:240
	s_waitcnt vmcnt(0)
	buffer_store_dword v165, off, s[24:27], 0 offset:372 ; 4-byte Folded Spill
	s_nop 0
	buffer_store_dword v166, off, s[24:27], 0 offset:376 ; 4-byte Folded Spill
	v_mul_f32_e32 v162, v114, v164
	v_fmac_f32_e32 v162, v115, v163
	v_mul_f32_e32 v114, v117, v166
	v_fma_f32 v163, v116, v165, -v114
	v_add_co_u32_e32 v114, vcc, s4, v180
	v_addc_co_u32_e64 v115, s[4:5], 0, -1, vcc
	s_movk_i32 s4, 0x48
	v_cmp_gt_u16_e32 vcc, s4, v180
	v_cndmask_b32_e32 v115, v115, v150, vcc
	v_cndmask_b32_e32 v114, v114, v149, vcc
	v_mul_f32_e32 v164, v116, v166
	v_lshlrev_b64 v[115:116], 3, v[114:115]
	v_fmac_f32_e32 v164, v117, v165
	v_add_co_u32_e32 v115, vcc, s10, v115
	v_addc_co_u32_e32 v116, vcc, v155, v116, vcc
	global_load_dwordx2 v[116:117], v[115:116], off offset:2800
	s_waitcnt vmcnt(0)
	buffer_store_dword v116, off, s[24:27], 0 offset:380 ; 4-byte Folded Spill
	s_nop 0
	buffer_store_dword v117, off, s[24:27], 0 offset:384 ; 4-byte Folded Spill
	s_movk_i32 s4, 0x2d83
	s_waitcnt lgkmcnt(10)
	v_mul_f32_e32 v115, v119, v117
	v_mul_f32_e32 v150, v118, v117
	v_fma_f32 v149, v118, v116, -v115
	v_fmac_f32_e32 v150, v119, v116
	global_load_dwordx2 v[116:117], v167, s[10:11] offset:2992
	s_waitcnt vmcnt(0)
	buffer_store_dword v116, off, s[24:27], 0 offset:460 ; 4-byte Folded Spill
	s_nop 0
	buffer_store_dword v117, off, s[24:27], 0 offset:464 ; 4-byte Folded Spill
	global_load_dwordx2 v[0:1], v167, s[10:11] offset:3760
	v_sub_f32_e32 v119, v104, v163
	v_sub_f32_e32 v118, v113, v162
	v_fma_f32 v104, v104, 2.0, -v119
	v_fma_f32 v113, v113, 2.0, -v118
	v_mul_f32_e32 v115, v121, v117
	v_fma_f32 v165, v120, v116, -v115
	s_waitcnt vmcnt(0) lgkmcnt(8)
	v_mul_f32_e32 v115, v123, v1
	v_fma_f32 v168, v122, v0, -v115
	buffer_store_dword v0, off, s[24:27], 0 offset:492 ; 4-byte Folded Spill
	s_nop 0
	buffer_store_dword v1, off, s[24:27], 0 offset:496 ; 4-byte Folded Spill
	v_mul_f32_e32 v166, v120, v117
	v_fmac_f32_e32 v166, v121, v116
	v_sub_f32_e32 v116, v111, v139
	v_sub_f32_e32 v117, v112, v161
	;; [unrolled: 1-line block ×3, first 2 shown]
	v_fma_f32 v111, v111, 2.0, -v116
	v_fma_f32 v112, v112, 2.0, -v117
	;; [unrolled: 1-line block ×3, first 2 shown]
	v_sub_f32_e32 v121, v106, v149
	v_fma_f32 v106, v106, 2.0, -v121
	v_mul_f32_e32 v169, v122, v1
	v_fmac_f32_e32 v169, v123, v0
	global_load_dwordx2 v[0:1], v[82:83], off offset:432
	s_waitcnt vmcnt(0)
	buffer_store_dword v0, off, s[24:27], 0 offset:500 ; 4-byte Folded Spill
	s_nop 0
	buffer_store_dword v1, off, s[24:27], 0 offset:504 ; 4-byte Folded Spill
	buffer_store_dword v198, off, s[24:27], 0 offset:268 ; 4-byte Folded Spill
	;; [unrolled: 1-line block ×3, first 2 shown]
	v_sub_f32_e32 v122, v107, v150
	v_fma_f32 v107, v107, 2.0, -v122
	v_sub_f32_e32 v123, v100, v165
	v_fma_f32 v100, v100, 2.0, -v123
	v_mul_f32_e32 v115, v125, v1
	v_fma_f32 v170, v124, v0, -v115
	v_mul_u32_u24_sdwa v115, v146, s4 dst_sel:DWORD dst_unused:UNUSED_PAD src0_sel:WORD_0 src1_sel:DWORD
	v_lshrrev_b32_e32 v172, 22, v115
	v_mul_lo_u16_e32 v115, 0x168, v172
	v_sub_u16_e32 v173, v146, v115
	v_lshlrev_b32_e32 v115, 3, v173
	global_load_dwordx2 v[246:247], v115, s[10:11] offset:2800
	v_mul_f32_e32 v171, v124, v1
	v_fmac_f32_e32 v171, v125, v0
	v_sub_f32_e32 v124, v101, v166
	v_sub_f32_e32 v125, v102, v168
	v_fma_f32 v101, v101, 2.0, -v124
	v_fma_f32 v102, v102, 2.0, -v125
	v_mov_b32_e32 v0, v208
	v_mov_b32_e32 v1, v211
	s_waitcnt vmcnt(0) lgkmcnt(6)
	v_mul_f32_e32 v115, v127, v247
	v_fma_f32 v174, v126, v246, -v115
	v_mul_u32_u24_e32 v115, 0x2d83, v198
	v_lshrrev_b32_e32 v115, 22, v115
	v_mul_lo_u16_e32 v115, 0x168, v115
	v_sub_u16_e32 v115, v198, v115
	v_lshlrev_b32_e32 v187, 3, v115
	global_load_dwordx2 v[248:249], v187, s[10:11] offset:2800
	v_mul_f32_e32 v175, v126, v247
	v_fmac_f32_e32 v175, v127, v246
	v_sub_f32_e32 v127, v96, v170
	v_sub_f32_e32 v126, v103, v169
	v_fma_f32 v96, v96, 2.0, -v127
	v_fma_f32 v103, v103, 2.0, -v126
	s_waitcnt vmcnt(0)
	v_mul_f32_e32 v115, v129, v249
	v_fma_f32 v176, v128, v248, -v115
	v_mul_u32_u24_sdwa v115, v148, s4 dst_sel:DWORD dst_unused:UNUSED_PAD src0_sel:WORD_0 src1_sel:DWORD
	v_lshrrev_b32_e32 v115, 22, v115
	v_mul_lo_u16_e32 v115, 0x168, v115
	v_sub_u16_e32 v115, v148, v115
	v_lshlrev_b32_e32 v188, 3, v115
	global_load_dwordx2 v[250:251], v188, s[10:11] offset:2800
	v_mul_f32_e32 v177, v128, v249
	v_fmac_f32_e32 v177, v129, v248
	v_sub_f32_e32 v128, v97, v171
	v_fma_f32 v97, v97, 2.0, -v128
	v_sub_f32_e32 v129, v98, v174
	v_fma_f32 v98, v98, 2.0, -v129
	s_waitcnt vmcnt(0) lgkmcnt(4)
	v_mul_f32_e32 v115, v131, v251
	v_fma_f32 v148, v130, v250, -v115
	v_mul_u32_u24_sdwa v115, v152, s4 dst_sel:DWORD dst_unused:UNUSED_PAD src0_sel:WORD_0 src1_sel:DWORD
	v_lshrrev_b32_e32 v115, 22, v115
	v_mul_lo_u16_e32 v115, 0x168, v115
	v_sub_u16_e32 v115, v152, v115
	v_lshlrev_b32_e32 v189, 3, v115
	global_load_dwordx2 v[252:253], v189, s[10:11] offset:2800
	v_mul_f32_e32 v178, v130, v251
	v_fmac_f32_e32 v178, v131, v250
	v_sub_f32_e32 v130, v99, v175
	v_sub_f32_e32 v131, v92, v176
	v_fma_f32 v99, v99, 2.0, -v130
	v_fma_f32 v92, v92, 2.0, -v131
	s_waitcnt vmcnt(0)
	v_mul_f32_e32 v115, v133, v253
	v_fma_f32 v152, v132, v252, -v115
	v_mul_u32_u24_sdwa v115, v154, s4 dst_sel:DWORD dst_unused:UNUSED_PAD src0_sel:WORD_0 src1_sel:DWORD
	v_lshrrev_b32_e32 v182, 22, v115
	v_mul_lo_u16_e32 v115, 0x168, v182
	v_sub_u16_e32 v154, v154, v115
	v_lshlrev_b32_e32 v115, 3, v154
	global_load_dwordx2 v[254:255], v115, s[10:11] offset:2800
	v_mul_f32_e32 v179, v132, v253
	v_fmac_f32_e32 v179, v133, v252
	v_sub_f32_e32 v132, v93, v177
	v_sub_f32_e32 v133, v94, v148
	v_fma_f32 v93, v93, 2.0, -v132
	v_fma_f32 v94, v94, 2.0, -v133
	s_waitcnt vmcnt(0) lgkmcnt(2)
	v_mul_f32_e32 v115, v135, v255
	v_fma_f32 v183, v134, v254, -v115
	v_mul_u32_u24_e32 v115, 0x2d83, v199
	v_lshrrev_b32_e32 v115, 22, v115
	v_mul_lo_u16_e32 v115, 0x168, v115
	v_sub_u16_e32 v115, v199, v115
	v_lshlrev_b32_e32 v196, 3, v115
	global_load_dwordx2 v[242:243], v196, s[10:11] offset:2800
	v_mul_f32_e32 v184, v134, v255
	v_fmac_f32_e32 v184, v135, v254
	v_sub_f32_e32 v134, v95, v178
	v_sub_f32_e32 v135, v88, v152
	v_fma_f32 v95, v95, 2.0, -v134
	v_fma_f32 v88, v88, 2.0, -v135
	s_waitcnt vmcnt(0)
	v_mul_f32_e32 v115, v137, v243
	v_fma_f32 v185, v136, v242, -v115
	v_mul_u32_u24_sdwa v115, v151, s4 dst_sel:DWORD dst_unused:UNUSED_PAD src0_sel:WORD_0 src1_sel:DWORD
	v_lshrrev_b32_e32 v115, 22, v115
	v_mul_lo_u16_e32 v115, 0x168, v115
	v_sub_u16_e32 v115, v151, v115
	v_lshlrev_b32_e32 v197, 3, v115
	global_load_dwordx2 v[240:241], v197, s[10:11] offset:2800
	v_mul_f32_e32 v186, v136, v243
	v_sub_f32_e32 v136, v89, v179
	v_fmac_f32_e32 v186, v137, v242
	v_fma_f32 v89, v89, 2.0, -v136
	v_sub_f32_e32 v137, v90, v183
	s_waitcnt lgkmcnt(1)
	v_sub_f32_e32 v148, v84, v185
	v_sub_f32_e32 v149, v85, v186
	v_fma_f32 v90, v90, 2.0, -v137
	v_fma_f32 v84, v84, 2.0, -v148
	;; [unrolled: 1-line block ×3, first 2 shown]
	v_mov_b32_e32 v179, v160
	s_waitcnt vmcnt(0) lgkmcnt(0)
	v_mul_f32_e32 v115, v157, v241
	v_fma_f32 v151, v156, v240, -v115
	v_mul_u32_u24_sdwa v115, v153, s4 dst_sel:DWORD dst_unused:UNUSED_PAD src0_sel:WORD_0 src1_sel:DWORD
	v_lshrrev_b32_e32 v115, 22, v115
	v_mul_lo_u16_e32 v115, 0x168, v115
	v_sub_u16_e32 v115, v153, v115
	v_lshlrev_b32_e32 v198, 3, v115
	global_load_dwordx2 v[238:239], v198, s[10:11] offset:2800
	s_waitcnt vmcnt(0)
	s_barrier
	s_movk_i32 s4, 0x47
	v_cmp_lt_u16_e32 vcc, s4, v180
	v_mul_f32_e32 v156, v156, v241
	s_movk_i32 s4, 0x2d0
	v_fmac_f32_e32 v156, v157, v240
	v_sub_f32_e32 v150, v86, v151
	v_sub_f32_e32 v151, v87, v156
	v_fma_f32 v86, v86, 2.0, -v150
	v_fma_f32 v87, v87, 2.0, -v151
	v_mul_f32_e32 v115, v159, v239
	v_fma_f32 v153, v158, v238, -v115
	v_sub_f32_e32 v115, v110, v138
	v_fma_f32 v110, v110, 2.0, -v115
	ds_write_b64 v167, v[115:116] offset:2880
	ds_write2_b64 v167, v[110:111], v[112:113] offset1:96
	ds_write_b64 v167, v[104:105] offset:1536
	v_add_u32_e32 v104, 0xc00, v167
	ds_write2_b64 v104, v[117:118], v[119:120] offset0:72 offset1:168
	v_mov_b32_e32 v104, 0x2d0
	v_cndmask_b32_e32 v104, 0, v104, vcc
	v_add_lshl_u32 v104, v114, v104, 3
	v_mul_f32_e32 v157, v158, v239
	buffer_store_dword v104, off, s[24:27], 0 offset:408 ; 4-byte Folded Spill
	ds_write_b64 v104, v[106:107]
	ds_write_b64 v104, v[121:122] offset:2880
	ds_write2_b64 v203, v[100:101], v[102:103] offset0:104 offset1:200
	ds_write2_b64 v202, v[96:97], v[123:124] offset0:40 offset1:208
	v_mad_legacy_u16 v96, v172, s4, v173
	v_fmac_f32_e32 v157, v159, v238
	v_lshlrev_b32_e32 v96, 3, v96
	v_sub_f32_e32 v138, v91, v184
	v_sub_f32_e32 v152, v80, v153
	;; [unrolled: 1-line block ×3, first 2 shown]
	ds_write2_b64 v160, v[125:126], v[127:128] offset0:48 offset1:144
	buffer_store_dword v96, off, s[24:27], 0 offset:424 ; 4-byte Folded Spill
	ds_write_b64 v96, v[98:99]
	ds_write_b64 v96, v[129:130] offset:2880
	buffer_store_dword v187, off, s[24:27], 0 offset:412 ; 4-byte Folded Spill
	ds_write_b64 v187, v[92:93] offset:11520
	ds_write_b64 v187, v[131:132] offset:14400
	buffer_store_dword v188, off, s[24:27], 0 offset:416 ; 4-byte Folded Spill
	ds_write_b64 v188, v[94:95] offset:11520
	;; [unrolled: 3-line block ×3, first 2 shown]
	ds_write_b64 v189, v[135:136] offset:14400
	v_mad_legacy_u16 v88, v182, s4, v154
	v_fma_f32 v91, v91, 2.0, -v138
	v_fma_f32 v80, v80, 2.0, -v152
	v_fma_f32 v81, v81, 2.0, -v153
	v_lshlrev_b32_e32 v88, 3, v88
	buffer_store_dword v88, off, s[24:27], 0 offset:440 ; 4-byte Folded Spill
	ds_write_b64 v88, v[90:91]
	ds_write_b64 v88, v[137:138] offset:2880
	buffer_store_dword v196, off, s[24:27], 0 offset:428 ; 4-byte Folded Spill
	ds_write_b64 v196, v[84:85] offset:17280
	ds_write_b64 v196, v[148:149] offset:20160
	buffer_store_dword v197, off, s[24:27], 0 offset:432 ; 4-byte Folded Spill
	ds_write_b64 v197, v[86:87] offset:17280
	;; [unrolled: 3-line block ×3, first 2 shown]
	ds_write_b64 v198, v[152:153] offset:20160
	s_waitcnt vmcnt(0) lgkmcnt(0)
	s_barrier
	ds_read2_b64 v[84:87], v167 offset1:96
	ds_read2_b64 v[88:91], v181 offset0:64 offset1:160
	ds_read2_b64 v[92:95], v141 offset1:96
	ds_read2_b64 v[96:99], v213 offset0:64 offset1:160
	ds_read2_b64 v[100:103], v208 offset0:64 offset1:160
	;; [unrolled: 1-line block ×6, first 2 shown]
	ds_read2_b64 v[122:125], v144 offset1:96
	ds_read2_b64 v[126:129], v140 offset1:96
	ds_read2_b64 v[130:133], v202 offset0:64 offset1:160
	ds_read2_b64 v[134:137], v211 offset0:64 offset1:160
	;; [unrolled: 1-line block ×4, first 2 shown]
	global_load_dwordx2 v[236:237], v[82:83], off offset:1584
	global_load_dwordx2 v[234:235], v[82:83], off offset:2352
	global_load_dwordx2 v[218:219], v[82:83], off offset:2736
	global_load_dwordx2 v[232:233], v[82:83], off offset:3120
	global_load_dwordx2 v[244:245], v[82:83], off offset:3888
	global_load_dwordx2 v[216:217], v[82:83], off offset:3504
	v_mov_b32_e32 v182, v181
	v_mov_b32_e32 v181, v209
	;; [unrolled: 1-line block ×3, first 2 shown]
	s_movk_i32 s4, 0xffd0
	global_load_dwordx2 v[220:221], v[82:83], off offset:1968
	s_waitcnt vmcnt(6) lgkmcnt(13)
	v_mul_f32_e32 v80, v91, v237
	v_fma_f32 v138, v90, v236, -v80
	s_waitcnt vmcnt(5) lgkmcnt(12)
	v_mul_f32_e32 v80, v93, v235
	v_fma_f32 v152, v92, v234, -v80
	v_mul_f32_e32 v153, v92, v235
	s_waitcnt vmcnt(3)
	v_mul_f32_e32 v80, v95, v233
	v_fmac_f32_e32 v153, v93, v234
	v_fma_f32 v93, v94, v232, -v80
	s_waitcnt vmcnt(2) lgkmcnt(10)
	v_mul_f32_e32 v80, v101, v245
	v_fma_f32 v154, v100, v244, -v80
	v_add_co_u32_e32 v80, vcc, s7, v108
	v_addc_co_u32_e32 v81, vcc, 0, v109, vcc
	global_load_dwordx2 v[208:209], v[80:81], off offset:2480
	global_load_dwordx2 v[228:229], v[80:81], off offset:560
	;; [unrolled: 1-line block ×5, first 2 shown]
	v_mul_f32_e32 v139, v90, v237
	global_load_dwordx2 v[214:215], v[80:81], off offset:176
	global_load_dwordx2 v[210:211], v[80:81], off offset:1712
	v_fmac_f32_e32 v139, v91, v236
	s_waitcnt vmcnt(8) lgkmcnt(4)
	v_mul_f32_e32 v82, v129, v217
	v_fma_f32 v172, v128, v216, -v82
	v_mul_f32_e32 v94, v94, v233
	v_mul_f32_e32 v161, v100, v245
	v_fmac_f32_e32 v94, v95, v232
	v_fmac_f32_e32 v161, v101, v244
	v_sub_f32_e32 v83, v85, v139
	v_sub_f32_e32 v93, v96, v93
	;; [unrolled: 1-line block ×5, first 2 shown]
	s_waitcnt vmcnt(7)
	v_mul_f32_e32 v169, v120, v221
	v_mul_f32_e32 v171, v126, v219
	;; [unrolled: 1-line block ×3, first 2 shown]
	v_fma_f32 v85, v85, 2.0, -v83
	v_fma_f32 v95, v96, 2.0, -v93
	;; [unrolled: 1-line block ×5, first 2 shown]
	v_fmac_f32_e32 v169, v121, v220
	v_fmac_f32_e32 v171, v127, v218
	;; [unrolled: 1-line block ×3, first 2 shown]
	s_waitcnt lgkmcnt(3)
	v_sub_f32_e32 v128, v130, v172
	v_sub_f32_e32 v129, v131, v173
	v_fma_f32 v130, v130, 2.0, -v128
	v_fma_f32 v131, v131, 2.0, -v129
	s_waitcnt vmcnt(5)
	v_mul_f32_e32 v90, v103, v229
	v_fma_f32 v162, v102, v228, -v90
	s_waitcnt vmcnt(3)
	v_mul_f32_e32 v90, v111, v231
	v_fma_f32 v164, v110, v230, -v90
	;; [unrolled: 3-line block ×3, first 2 shown]
	v_add_co_u32_e32 v90, vcc, s4, v180
	v_addc_co_u32_e64 v91, s[4:5], 0, -1, vcc
	v_cmp_gt_u16_e32 vcc, 48, v180
	v_cndmask_b32_e32 v91, v91, v147, vcc
	v_cndmask_b32_e32 v90, v90, v146, vcc
	v_lshlrev_b64 v[91:92], 3, v[90:91]
	s_waitcnt vmcnt(1) lgkmcnt(2)
	v_mul_f32_e32 v82, v135, v215
	v_add_co_u32_e32 v91, vcc, s10, v91
	v_addc_co_u32_e32 v92, vcc, v155, v92, vcc
	v_add_co_u32_e32 v91, vcc, s6, v91
	v_addc_co_u32_e32 v92, vcc, 0, v92, vcc
	global_load_dwordx2 v[222:223], v[91:92], off offset:1584
	v_fma_f32 v174, v134, v214, -v82
	v_mul_f32_e32 v82, v137, v213
	v_mul_f32_e32 v163, v102, v229
	;; [unrolled: 1-line block ×4, first 2 shown]
	v_fma_f32 v176, v136, v212, -v82
	s_waitcnt vmcnt(1) lgkmcnt(0)
	v_mul_f32_e32 v82, v157, v211
	v_fmac_f32_e32 v163, v103, v228
	v_fmac_f32_e32 v165, v111, v230
	v_fmac_f32_e32 v168, v113, v224
	v_fma_f32 v178, v156, v210, -v82
	v_mul_f32_e32 v156, v156, v211
	v_mul_f32_e32 v82, v159, v209
	;; [unrolled: 1-line block ×3, first 2 shown]
	v_fmac_f32_e32 v156, v157, v210
	v_fma_f32 v157, v158, v208, -v82
	v_sub_f32_e32 v82, v84, v138
	v_sub_f32_e32 v92, v87, v153
	;; [unrolled: 1-line block ×8, first 2 shown]
	v_mul_f32_e32 v175, v134, v215
	v_fmac_f32_e32 v177, v137, v212
	v_mul_f32_e32 v158, v158, v209
	v_fma_f32 v84, v84, 2.0, -v82
	v_fma_f32 v87, v87, 2.0, -v92
	;; [unrolled: 1-line block ×8, first 2 shown]
	s_waitcnt vmcnt(0)
	s_barrier
	v_cmp_lt_u16_e32 vcc, 47, v180
	v_fmac_f32_e32 v175, v135, v214
	v_fmac_f32_e32 v158, v159, v208
	v_sub_f32_e32 v136, v148, v176
	v_sub_f32_e32 v137, v149, v177
	;; [unrolled: 1-line block ×4, first 2 shown]
	v_fma_f32 v138, v148, 2.0, -v136
	v_fma_f32 v139, v149, 2.0, -v137
	;; [unrolled: 1-line block ×4, first 2 shown]
	v_mov_b32_e32 v159, v182
	v_mul_f32_e32 v91, v119, v223
	v_fma_f32 v146, v118, v222, -v91
	v_mul_f32_e32 v91, v121, v221
	v_fma_f32 v155, v120, v220, -v91
	v_mul_f32_e32 v91, v127, v219
	v_mul_f32_e32 v147, v118, v223
	v_fma_f32 v170, v126, v218, -v91
	v_sub_f32_e32 v91, v86, v152
	v_fmac_f32_e32 v147, v119, v222
	v_fma_f32 v86, v86, 2.0, -v91
	ds_write_b64 v167, v[82:83] offset:5760
	ds_write2_b64 v167, v[84:85], v[86:87] offset1:96
	ds_write2_b64 v144, v[91:92], v[93:94] offset0:48 offset1:144
	ds_write2_b64 v3, v[95:96], v[97:98] offset0:64 offset1:160
	ds_write2_b64 v202, v[100:101], v[102:103] offset0:112 offset1:208
	ds_write2_b64 v142, v[104:105], v[106:107] offset0:128 offset1:224
	ds_write_b64 v167, v[114:115] offset:4608
	ds_write2_b64 v179, v[110:111], v[112:113] offset0:48 offset1:144
	v_mov_b32_e32 v82, 0x5a0
	v_sub_f32_e32 v118, v116, v146
	v_sub_f32_e32 v119, v117, v147
	;; [unrolled: 1-line block ×4, first 2 shown]
	v_cndmask_b32_e32 v82, 0, v82, vcc
	v_fma_f32 v116, v116, 2.0, -v118
	v_fma_f32 v117, v117, 2.0, -v119
	v_sub_f32_e32 v120, v122, v155
	v_sub_f32_e32 v121, v123, v169
	v_sub_f32_e32 v126, v124, v170
	v_sub_f32_e32 v127, v125, v171
	v_fma_f32 v148, v150, 2.0, -v146
	v_fma_f32 v149, v151, 2.0, -v147
	v_sub_f32_e32 v150, v88, v157
	v_sub_f32_e32 v151, v89, v158
	v_add_lshl_u32 v82, v90, v82, 3
	v_fma_f32 v122, v122, 2.0, -v120
	v_fma_f32 v123, v123, 2.0, -v121
	;; [unrolled: 1-line block ×6, first 2 shown]
	buffer_store_dword v82, off, s[24:27], 0 offset:444 ; 4-byte Folded Spill
	ds_write_b64 v82, v[116:117]
	ds_write_b64 v82, v[118:119] offset:5760
	v_add_u32_e32 v82, 0x2c00, v167
	ds_write2_b64 v82, v[122:123], v[124:125] offset0:80 offset1:176
	v_mov_b32_e32 v154, v82
	ds_write2_b64 v140, v[126:127], v[128:129] offset1:96
	ds_write2_b64 v141, v[130:131], v[132:133] offset0:144 offset1:240
	ds_write2_b64 v1, v[134:135], v[136:137] offset0:64 offset1:160
	;; [unrolled: 1-line block ×5, first 2 shown]
	s_waitcnt vmcnt(0) lgkmcnt(0)
	s_barrier
	ds_read2_b64 v[82:85], v167 offset1:96
	ds_read2_b64 v[86:89], v182 offset0:64 offset1:160
	ds_read2_b64 v[90:93], v141 offset1:96
	ds_read2_b64 v[94:97], v3 offset0:64 offset1:160
	ds_read2_b64 v[98:101], v0 offset0:64 offset1:160
	;; [unrolled: 1-line block ×6, first 2 shown]
	ds_read2_b64 v[122:125], v144 offset1:96
	ds_read2_b64 v[126:129], v140 offset1:96
	ds_read2_b64 v[130:133], v202 offset0:64 offset1:160
	ds_read2_b64 v[134:137], v1 offset0:64 offset1:160
	global_load_dwordx2 v[198:199], v[80:81], off offset:3248
	global_load_dwordx2 v[196:197], v[80:81], off offset:4016
	v_mov_b32_e32 v157, v179
	ds_read2_b64 v[150:153], v143 offset0:128 offset1:224
	ds_read2_b64 v[146:149], v160 offset0:128 offset1:224
	v_mov_b32_e32 v155, v141
	v_mov_b32_e32 v156, v3
	;; [unrolled: 1-line block ×5, first 2 shown]
	s_waitcnt vmcnt(1) lgkmcnt(13)
	v_mul_f32_e32 v106, v89, v199
	v_fma_f32 v106, v88, v198, -v106
	v_mul_f32_e32 v88, v88, v199
	s_waitcnt vmcnt(0) lgkmcnt(12)
	v_mul_f32_e32 v80, v91, v197
	v_fmac_f32_e32 v88, v89, v198
	v_fma_f32 v89, v90, v196, -v80
	v_add_co_u32_e32 v80, vcc, s14, v108
	v_addc_co_u32_e32 v81, vcc, 0, v109, vcc
	global_load_dwordx2 v[188:189], v[80:81], off offset:688
	global_load_dwordx2 v[186:187], v[80:81], off offset:1456
	;; [unrolled: 1-line block ×5, first 2 shown]
	v_mul_f32_e32 v90, v90, v197
	v_fmac_f32_e32 v90, v91, v196
	s_waitcnt vmcnt(4)
	v_mul_f32_e32 v91, v93, v189
	v_fma_f32 v91, v92, v188, -v91
	v_mul_f32_e32 v92, v92, v189
	v_fmac_f32_e32 v92, v93, v188
	s_waitcnt vmcnt(3) lgkmcnt(10)
	v_mul_f32_e32 v93, v99, v187
	v_fma_f32 v107, v98, v186, -v93
	v_mul_f32_e32 v98, v98, v187
	s_waitcnt vmcnt(2)
	v_mul_f32_e32 v93, v101, v185
	v_fmac_f32_e32 v98, v99, v186
	v_fma_f32 v99, v100, v184, -v93
	s_waitcnt vmcnt(1) lgkmcnt(8)
	v_mul_f32_e32 v93, v111, v183
	v_fma_f32 v138, v110, v182, -v93
	v_mul_f32_e32 v110, v110, v183
	s_waitcnt vmcnt(0)
	v_mul_f32_e32 v80, v113, v179
	v_fmac_f32_e32 v110, v111, v182
	v_fma_f32 v111, v112, v178, -v80
	v_add_co_u32_e32 v80, vcc, s15, v108
	v_addc_co_u32_e32 v81, vcc, 0, v109, vcc
	global_load_dwordx2 v[176:177], v[80:81], off offset:432
	global_load_dwordx2 v[174:175], v[80:81], off offset:1200
	;; [unrolled: 1-line block ×5, first 2 shown]
	v_mul_f32_e32 v112, v112, v179
	v_fmac_f32_e32 v112, v113, v178
	v_mul_f32_e32 v100, v100, v185
	v_fmac_f32_e32 v100, v101, v184
	s_waitcnt vmcnt(4) lgkmcnt(6)
	v_mul_f32_e32 v93, v119, v177
	v_fma_f32 v113, v118, v176, -v93
	v_mul_f32_e32 v118, v118, v177
	s_waitcnt vmcnt(3)
	v_mul_f32_e32 v93, v121, v175
	v_fmac_f32_e32 v118, v119, v176
	v_fma_f32 v119, v120, v174, -v93
	v_mul_f32_e32 v120, v120, v175
	s_waitcnt vmcnt(2) lgkmcnt(4)
	v_mul_f32_e32 v93, v127, v173
	v_fmac_f32_e32 v120, v121, v174
	v_fma_f32 v121, v126, v172, -v93
	v_mul_f32_e32 v126, v126, v173
	s_waitcnt vmcnt(1)
	v_mul_f32_e32 v93, v129, v169
	v_fmac_f32_e32 v126, v127, v172
	v_fma_f32 v127, v128, v168, -v93
	v_mul_f32_e32 v128, v128, v169
	s_waitcnt vmcnt(0) lgkmcnt(2)
	v_mul_f32_e32 v80, v135, v171
	v_fmac_f32_e32 v128, v129, v168
	v_fma_f32 v129, v134, v170, -v80
	v_add_co_u32_e32 v80, vcc, s16, v108
	v_addc_co_u32_e32 v81, vcc, 0, v109, vcc
	global_load_dwordx2 v[165:166], v[80:81], off offset:176
	global_load_dwordx2 v[163:164], v[80:81], off offset:944
	;; [unrolled: 1-line block ×3, first 2 shown]
	v_mul_f32_e32 v134, v134, v171
	v_fmac_f32_e32 v134, v135, v170
	v_sub_f32_e32 v81, v83, v88
	v_sub_f32_e32 v88, v84, v89
	;; [unrolled: 1-line block ×5, first 2 shown]
	v_fma_f32 v92, v94, 2.0, -v90
	v_sub_f32_e32 v94, v96, v107
	v_sub_f32_e32 v107, v115, v112
	v_fma_f32 v109, v115, 2.0, -v107
	v_sub_f32_e32 v115, v123, v120
	v_fma_f32 v83, v83, 2.0, -v81
	v_fma_f32 v84, v84, 2.0, -v88
	v_fma_f32 v85, v85, 2.0, -v89
	v_fma_f32 v96, v96, 2.0, -v94
	s_waitcnt vmcnt(2)
	v_mul_f32_e32 v93, v137, v166
	v_fma_f32 v135, v136, v165, -v93
	v_mul_f32_e32 v136, v136, v166
	s_waitcnt vmcnt(1) lgkmcnt(1)
	v_mul_f32_e32 v93, v151, v164
	s_waitcnt vmcnt(0)
	v_mul_f32_e32 v80, v153, v162
	v_fmac_f32_e32 v136, v137, v165
	v_fma_f32 v137, v150, v163, -v93
	v_mul_f32_e32 v139, v150, v164
	v_fma_f32 v150, v152, v161, -v80
	v_sub_f32_e32 v80, v82, v106
	v_fma_f32 v93, v95, 2.0, -v91
	v_sub_f32_e32 v95, v97, v98
	v_sub_f32_e32 v98, v102, v99
	;; [unrolled: 1-line block ×4, first 2 shown]
	v_fma_f32 v101, v103, 2.0, -v99
	v_sub_f32_e32 v103, v105, v110
	v_fma_f32 v108, v114, 2.0, -v106
	v_sub_f32_e32 v110, v116, v113
	v_sub_f32_e32 v114, v122, v119
	v_fmac_f32_e32 v139, v151, v163
	v_mul_f32_e32 v151, v152, v162
	v_sub_f32_e32 v111, v117, v118
	v_fma_f32 v112, v116, 2.0, -v110
	v_fma_f32 v116, v122, 2.0, -v114
	v_sub_f32_e32 v118, v124, v121
	v_sub_f32_e32 v122, v130, v127
	v_fmac_f32_e32 v151, v153, v161
	v_fma_f32 v100, v102, 2.0, -v98
	v_sub_f32_e32 v102, v104, v138
	v_fma_f32 v113, v117, 2.0, -v111
	v_fma_f32 v117, v123, 2.0, -v115
	v_sub_f32_e32 v119, v125, v126
	v_fma_f32 v120, v124, 2.0, -v118
	v_sub_f32_e32 v123, v131, v128
	;; [unrolled: 2-line block ×3, first 2 shown]
	s_waitcnt lgkmcnt(0)
	v_sub_f32_e32 v130, v146, v135
	v_fma_f32 v82, v82, 2.0, -v80
	v_fma_f32 v97, v97, 2.0, -v95
	;; [unrolled: 1-line block ×6, first 2 shown]
	v_sub_f32_e32 v127, v133, v134
	v_fma_f32 v128, v132, 2.0, -v126
	v_sub_f32_e32 v131, v147, v136
	v_fma_f32 v132, v146, 2.0, -v130
	v_sub_f32_e32 v134, v148, v137
	v_sub_f32_e32 v135, v149, v139
	v_sub_f32_e32 v138, v86, v150
	v_sub_f32_e32 v139, v87, v151
	ds_write_b64 v167, v[80:81] offset:11520
	ds_write2_b64 v167, v[82:83], v[84:85] offset1:96
	ds_write2_b64 v155, v[88:89], v[90:91] offset1:96
	ds_write2_b64 v156, v[92:93], v[96:97] offset0:64 offset1:160
	ds_write2_b64 v0, v[94:95], v[98:99] offset0:64 offset1:160
	;; [unrolled: 1-line block ×4, first 2 shown]
	v_add_co_u32_e32 v146, vcc, s2, v167
	v_mov_b32_e32 v80, s3
	v_fma_f32 v129, v133, 2.0, -v127
	v_fma_f32 v133, v147, 2.0, -v131
	;; [unrolled: 1-line block ×6, first 2 shown]
	ds_write2_b64 v181, v[108:109], v[112:113] offset0:64 offset1:160
	ds_write2_b64 v2, v[110:111], v[114:115] offset0:64 offset1:160
	ds_write2_b64 v144, v[116:117], v[120:121] offset1:96
	ds_write2_b64 v141, v[118:119], v[122:123] offset1:96
	ds_write2_b64 v202, v[124:125], v[128:129] offset0:64 offset1:160
	ds_write2_b64 v1, v[126:127], v[130:131] offset0:64 offset1:160
	;; [unrolled: 1-line block ×3, first 2 shown]
	ds_write_b64 v167, v[86:87] offset:10752
	ds_write2_b64 v143, v[134:135], v[138:139] offset0:128 offset1:224
	s_waitcnt lgkmcnt(0)
	s_barrier
	v_addc_co_u32_e32 v147, vcc, 0, v80, vcc
	global_load_dwordx2 v[80:81], v167, s[2:3]
	ds_read2_b64 v[102:105], v167 offset1:96
	v_add_co_u32_e32 v130, vcc, s6, v146
	v_addc_co_u32_e32 v131, vcc, 0, v147, vcc
	v_mov_b32_e32 v88, v181
	v_add_co_u32_e32 v98, vcc, s7, v146
	v_addc_co_u32_e32 v99, vcc, 0, v147, vcc
	v_mov_b32_e32 v1, v88
	v_add_co_u32_e32 v96, vcc, s14, v146
	v_addc_co_u32_e32 v97, vcc, 0, v147, vcc
	v_mov_b32_e32 v181, v141
	v_mov_b32_e32 v150, v144
	v_mov_b32_e32 v152, v0
	s_waitcnt vmcnt(0) lgkmcnt(0)
	v_mul_f32_e32 v82, v103, v81
	v_mul_f32_e32 v83, v102, v81
	v_fma_f32 v82, v102, v80, -v82
	v_fmac_f32_e32 v83, v103, v80
	global_load_dwordx2 v[80:81], v167, s[2:3] offset:2304
	ds_write_b64 v167, v[82:83]
	ds_read2_b64 v[106:109], v156 offset0:64 offset1:160
	ds_read2_b64 v[92:95], v144 offset1:96
	ds_read2_b64 v[112:115], v160 offset0:128 offset1:224
	ds_read2_b64 v[116:119], v0 offset0:64 offset1:160
	;; [unrolled: 1-line block ×3, first 2 shown]
	ds_read2_b64 v[120:123], v141 offset1:96
	v_mov_b32_e32 v160, v140
	ds_read2_b64 v[124:127], v142 offset0:128 offset1:224
	v_mov_b32_e32 v0, v156
	s_waitcnt vmcnt(0) lgkmcnt(6)
	v_mul_f32_e32 v82, v109, v81
	v_mul_f32_e32 v129, v108, v81
	v_fma_f32 v128, v108, v80, -v82
	v_fmac_f32_e32 v129, v109, v80
	global_load_dwordx2 v[80:81], v[130:131], off offset:512
	ds_read2_b64 v[108:111], v88 offset0:64 offset1:160
	ds_read2_b64 v[88:91], v159 offset0:64 offset1:160
	s_waitcnt vmcnt(0) lgkmcnt(1)
	v_mul_f32_e32 v82, v109, v81
	v_mul_f32_e32 v103, v108, v81
	v_fma_f32 v102, v108, v80, -v82
	v_fmac_f32_e32 v103, v109, v80
	global_load_dwordx2 v[80:81], v[130:131], off offset:2816
	s_waitcnt vmcnt(0)
	v_mul_f32_e32 v82, v95, v81
	v_mul_f32_e32 v133, v94, v81
	v_fma_f32 v132, v94, v80, -v82
	v_fmac_f32_e32 v133, v95, v80
	buffer_load_dword v80, off, s[24:27], 0 offset:468 ; 4-byte Folded Reload
	s_waitcnt vmcnt(0)
	global_load_dwordx2 v[80:81], v80, s[2:3]
	s_waitcnt vmcnt(0)
	v_mul_f32_e32 v82, v113, v81
	v_mul_f32_e32 v101, v112, v81
	v_fma_f32 v100, v112, v80, -v82
	v_fmac_f32_e32 v101, v113, v80
	global_load_dwordx2 v[80:81], v[98:99], off offset:3328
	s_waitcnt vmcnt(0) lgkmcnt(0)
	v_mul_f32_e32 v82, v91, v81
	v_mul_f32_e32 v135, v90, v81
	v_fma_f32 v134, v90, v80, -v82
	v_fmac_f32_e32 v135, v91, v80
	global_load_dwordx2 v[80:81], v[96:97], off offset:1536
	s_waitcnt vmcnt(0)
	v_mul_f32_e32 v82, v117, v81
	v_mul_f32_e32 v95, v116, v81
	v_fma_f32 v94, v116, v80, -v82
	v_fmac_f32_e32 v95, v117, v80
	global_load_dwordx2 v[80:81], v[96:97], off offset:3840
	s_waitcnt vmcnt(0)
	v_mul_f32_e32 v82, v87, v81
	v_mul_f32_e32 v137, v86, v81
	v_fma_f32 v136, v86, v80, -v82
	v_fmac_f32_e32 v137, v87, v80
	buffer_load_dword v80, off, s[24:27], 0 offset:472 ; 4-byte Folded Reload
	v_add_co_u32_e32 v86, vcc, s16, v146
	v_addc_co_u32_e32 v87, vcc, 0, v147, vcc
	global_load_dwordx2 v[108:109], v[86:87], off offset:256
	s_waitcnt vmcnt(1)
	global_load_dwordx2 v[80:81], v80, s[2:3]
	s_waitcnt vmcnt(0)
	v_mul_f32_e32 v82, v121, v81
	v_mul_f32_e32 v91, v120, v81
	v_fma_f32 v90, v120, v80, -v82
	v_fmac_f32_e32 v91, v121, v80
	ds_read2_b64 v[80:83], v140 offset0:64 offset1:160
	s_waitcnt lgkmcnt(0)
	v_mul_f32_e32 v112, v83, v109
	v_mul_f32_e32 v139, v82, v109
	v_fma_f32 v138, v82, v108, -v112
	v_fmac_f32_e32 v139, v83, v108
	global_load_dwordx2 v[82:83], v167, s[2:3] offset:768
	s_waitcnt vmcnt(0)
	v_mul_f32_e32 v108, v105, v83
	v_mul_f32_e32 v141, v104, v83
	v_fma_f32 v140, v104, v82, -v108
	v_fmac_f32_e32 v141, v105, v82
	global_load_dwordx2 v[82:83], v167, s[2:3] offset:3072
	s_waitcnt vmcnt(0)
	v_mul_f32_e32 v104, v125, v83
	v_mul_f32_e32 v105, v124, v83
	v_fma_f32 v104, v124, v82, -v104
	v_fmac_f32_e32 v105, v125, v82
	global_load_dwordx2 v[82:83], v[130:131], off offset:1280
	ds_write2_b64 v142, v[128:129], v[104:105] offset0:32 offset1:128
	s_waitcnt vmcnt(0)
	v_mul_f32_e32 v104, v111, v83
	v_mul_f32_e32 v105, v110, v83
	v_fma_f32 v104, v110, v82, -v104
	v_fmac_f32_e32 v105, v111, v82
	global_load_dwordx2 v[82:83], v[130:131], off offset:3584
	ds_read2_b64 v[108:111], v202 offset0:64 offset1:160
	v_mov_b32_e32 v130, v2
	s_waitcnt vmcnt(0) lgkmcnt(0)
	v_mul_f32_e32 v112, v109, v83
	v_mul_f32_e32 v113, v108, v83
	v_fma_f32 v112, v108, v82, -v112
	v_fmac_f32_e32 v113, v109, v82
	global_load_dwordx2 v[82:83], v[98:99], off offset:1792
	ds_write2_b64 v144, v[132:133], v[112:113] offset0:96 offset1:192
	s_waitcnt vmcnt(0)
	v_mul_f32_e32 v108, v115, v83
	v_mul_f32_e32 v109, v114, v83
	v_fma_f32 v108, v114, v82, -v108
	v_fmac_f32_e32 v109, v115, v82
	buffer_load_dword v82, off, s[24:27], 0 offset:476 ; 4-byte Folded Reload
	ds_read2_b64 v[112:115], v155 offset1:96
	s_waitcnt vmcnt(0)
	global_load_dwordx2 v[82:83], v82, s[2:3]
	s_waitcnt vmcnt(0) lgkmcnt(0)
	v_mul_f32_e32 v116, v113, v83
	v_mul_f32_e32 v117, v112, v83
	v_fma_f32 v116, v112, v82, -v116
	v_fmac_f32_e32 v117, v113, v82
	global_load_dwordx2 v[82:83], v[96:97], off offset:2304
	ds_write2_b64 v154, v[134:135], v[116:117] offset0:32 offset1:128
	s_waitcnt vmcnt(0)
	v_mul_f32_e32 v112, v119, v83
	v_mul_f32_e32 v113, v118, v83
	v_fma_f32 v112, v118, v82, -v112
	v_fmac_f32_e32 v113, v119, v82
	v_add_co_u32_e32 v82, vcc, s15, v146
	v_addc_co_u32_e32 v83, vcc, 0, v147, vcc
	global_load_dwordx2 v[120:121], v[82:83], off offset:512
	ds_read2_b64 v[116:119], v2 offset0:64 offset1:160
	v_mov_b32_e32 v2, v152
	s_waitcnt vmcnt(0) lgkmcnt(0)
	v_mul_f32_e32 v124, v117, v121
	v_mul_f32_e32 v125, v116, v121
	v_fma_f32 v124, v116, v120, -v124
	v_fmac_f32_e32 v125, v117, v120
	v_add_u32_e32 v116, 0x3c00, v167
	ds_write2_b64 v116, v[136:137], v[124:125] offset0:96 offset1:192
	global_load_dwordx2 v[116:117], v[82:83], off offset:2816
	s_waitcnt vmcnt(0)
	v_mul_f32_e32 v120, v123, v117
	v_mul_f32_e32 v125, v122, v117
	v_fma_f32 v124, v122, v116, -v120
	v_fmac_f32_e32 v125, v123, v116
	buffer_load_dword v116, off, s[24:27], 0 offset:480 ; 4-byte Folded Reload
	ds_read2_b64 v[120:123], v143 offset0:128 offset1:224
	s_waitcnt vmcnt(0)
	global_load_dwordx2 v[116:117], v116, s[2:3]
	s_waitcnt vmcnt(0) lgkmcnt(0)
	v_mul_f32_e32 v128, v121, v117
	v_mul_f32_e32 v129, v120, v117
	v_fma_f32 v128, v120, v116, -v128
	v_fmac_f32_e32 v129, v121, v116
	global_load_dwordx2 v[116:117], v167, s[2:3] offset:1536
	ds_write2_b64 v143, v[138:139], v[128:129] offset0:32 offset1:128
	s_waitcnt vmcnt(0)
	v_mul_f32_e32 v120, v107, v117
	v_mul_f32_e32 v121, v106, v117
	v_fma_f32 v120, v106, v116, -v120
	v_fmac_f32_e32 v121, v107, v116
	global_load_dwordx2 v[106:107], v167, s[2:3] offset:3840
	ds_write2_b64 v167, v[140:141], v[120:121] offset0:96 offset1:192
	s_waitcnt vmcnt(0)
	v_mul_f32_e32 v116, v127, v107
	v_mul_f32_e32 v117, v126, v107
	v_fma_f32 v116, v126, v106, -v116
	v_fmac_f32_e32 v117, v127, v106
	v_add_u32_e32 v106, 0xc00, v167
	ds_write2_b64 v106, v[116:117], v[102:103] offset0:96 offset1:192
	buffer_load_dword v102, off, s[24:27], 0 offset:484 ; 4-byte Folded Reload
	s_waitcnt vmcnt(0)
	global_load_dwordx2 v[102:103], v102, s[2:3]
	s_waitcnt vmcnt(0)
	v_mul_f32_e32 v106, v93, v103
	v_mul_f32_e32 v107, v92, v103
	v_fma_f32 v106, v92, v102, -v106
	v_fmac_f32_e32 v107, v93, v102
	global_load_dwordx2 v[92:93], v[98:99], off offset:256
	ds_write2_b64 v203, v[104:105], v[106:107] offset0:32 offset1:128
	v_mov_b32_e32 v203, v155
	s_waitcnt vmcnt(0)
	v_mul_f32_e32 v102, v111, v93
	v_mul_f32_e32 v103, v110, v93
	v_fma_f32 v102, v110, v92, -v102
	v_fmac_f32_e32 v103, v111, v92
	global_load_dwordx2 v[92:93], v[98:99], off offset:2560
	ds_write2_b64 v3, v[102:103], v[100:101] offset0:32 offset1:128
	s_waitcnt vmcnt(0)
	v_mul_f32_e32 v98, v89, v93
	v_mul_f32_e32 v99, v88, v93
	v_fma_f32 v98, v88, v92, -v98
	v_fmac_f32_e32 v99, v89, v92
	global_load_dwordx2 v[88:89], v[96:97], off offset:768
	ds_write2_b64 v157, v[108:109], v[98:99] offset0:96 offset1:192
	s_waitcnt vmcnt(0)
	v_mul_f32_e32 v92, v115, v89
	v_mul_f32_e32 v93, v114, v89
	v_fma_f32 v92, v114, v88, -v92
	v_fmac_f32_e32 v93, v115, v88
	buffer_load_dword v88, off, s[24:27], 0 offset:488 ; 4-byte Folded Reload
	ds_write2_b64 v155, v[92:93], v[94:95] offset0:96 offset1:192
	v_mov_b32_e32 v94, v145
	s_waitcnt vmcnt(0)
	global_load_dwordx2 v[88:89], v88, s[2:3]
	s_mov_b32 s2, 0x16c16c17
	s_mov_b32 s3, 0x3f36c16c
	s_waitcnt vmcnt(0)
	v_mul_f32_e32 v92, v85, v89
	v_mul_f32_e32 v93, v84, v89
	v_fma_f32 v92, v84, v88, -v92
	v_fmac_f32_e32 v93, v85, v88
	global_load_dwordx2 v[84:85], v[82:83], off offset:1280
	ds_write2_b64 v145, v[112:113], v[92:93] offset0:32 offset1:128
	global_load_dwordx2 v[82:83], v[82:83], off offset:3584
	s_waitcnt vmcnt(1)
	v_mul_f32_e32 v88, v119, v85
	v_mul_f32_e32 v89, v118, v85
	v_fma_f32 v88, v118, v84, -v88
	v_fmac_f32_e32 v89, v119, v84
	v_add_u32_e32 v84, 0x4400, v167
	ds_write2_b64 v84, v[88:89], v[90:91] offset0:32 offset1:128
	s_waitcnt vmcnt(0)
	v_mul_f32_e32 v84, v81, v83
	v_mul_f32_e32 v85, v80, v83
	v_fma_f32 v84, v80, v82, -v84
	v_fmac_f32_e32 v85, v81, v82
	global_load_dwordx2 v[80:81], v[86:87], off offset:1792
	ds_write2_b64 v181, v[124:125], v[84:85] offset0:96 offset1:192
	s_waitcnt vmcnt(0)
	v_mul_f32_e32 v82, v123, v81
	v_mul_f32_e32 v83, v122, v81
	v_fma_f32 v82, v122, v80, -v82
	v_fmac_f32_e32 v83, v123, v80
	ds_write_b64 v167, v[82:83] offset:22272
	s_waitcnt lgkmcnt(0)
	s_barrier
	ds_read2_b64 v[100:103], v167 offset1:96
	ds_read2_b64 v[80:83], v156 offset0:64 offset1:160
	ds_read2_b64 v[104:107], v1 offset0:64 offset1:160
	ds_read2_b64 v[144:147], v144 offset1:96
	v_mov_b32_e32 v1, v150
	ds_read2_b64 v[108:111], v3 offset0:128 offset1:224
	ds_read2_b64 v[148:151], v159 offset0:64 offset1:160
	;; [unrolled: 1-line block ×4, first 2 shown]
	ds_read2_b64 v[122:125], v181 offset1:96
	ds_read2_b64 v[156:159], v160 offset0:64 offset1:160
	ds_read2_b64 v[84:87], v142 offset0:128 offset1:224
	s_waitcnt lgkmcnt(8)
	v_add_f32_e32 v116, v100, v104
	s_waitcnt lgkmcnt(6)
	v_add_f32_e32 v116, v116, v108
	v_sub_f32_e32 v120, v104, v108
	s_waitcnt lgkmcnt(4)
	v_add_f32_e32 v116, v116, v112
	s_waitcnt lgkmcnt(2)
	v_add_f32_e32 v118, v116, v122
	v_add_f32_e32 v116, v108, v112
	v_fma_f32 v119, -0.5, v116, v100
	v_sub_f32_e32 v116, v105, v123
	v_mov_b32_e32 v126, v119
	v_fmac_f32_e32 v126, 0xbf737871, v116
	v_sub_f32_e32 v117, v109, v113
	v_sub_f32_e32 v121, v122, v112
	v_fmac_f32_e32 v119, 0x3f737871, v116
	v_fmac_f32_e32 v126, 0xbf167918, v117
	v_add_f32_e32 v120, v120, v121
	v_fmac_f32_e32 v119, 0x3f167918, v117
	v_fmac_f32_e32 v126, 0x3e9e377a, v120
	;; [unrolled: 1-line block ×3, first 2 shown]
	v_add_f32_e32 v120, v104, v122
	v_fma_f32 v100, -0.5, v120, v100
	v_mov_b32_e32 v127, v100
	v_fmac_f32_e32 v127, 0x3f737871, v117
	v_fmac_f32_e32 v100, 0xbf737871, v117
	;; [unrolled: 1-line block ×4, first 2 shown]
	v_add_f32_e32 v116, v101, v105
	v_add_f32_e32 v116, v116, v109
	v_add_f32_e32 v116, v116, v113
	v_add_f32_e32 v129, v116, v123
	v_add_f32_e32 v116, v109, v113
	v_fma_f32 v131, -0.5, v116, v101
	v_sub_f32_e32 v120, v108, v104
	v_sub_f32_e32 v104, v104, v122
	v_mov_b32_e32 v133, v131
	v_sub_f32_e32 v121, v112, v122
	v_fmac_f32_e32 v133, 0x3f737871, v104
	v_sub_f32_e32 v108, v108, v112
	v_sub_f32_e32 v112, v105, v109
	;; [unrolled: 1-line block ×3, first 2 shown]
	v_fmac_f32_e32 v131, 0xbf737871, v104
	v_fmac_f32_e32 v133, 0x3f167918, v108
	v_add_f32_e32 v112, v112, v116
	v_fmac_f32_e32 v131, 0xbf167918, v108
	v_fmac_f32_e32 v133, 0x3e9e377a, v112
	;; [unrolled: 1-line block ×3, first 2 shown]
	v_add_f32_e32 v112, v105, v123
	v_fma_f32 v101, -0.5, v112, v101
	v_mov_b32_e32 v112, v101
	v_fmac_f32_e32 v112, 0xbf737871, v108
	v_sub_f32_e32 v105, v109, v105
	v_sub_f32_e32 v109, v113, v123
	v_fmac_f32_e32 v101, 0x3f737871, v108
	v_fmac_f32_e32 v112, 0x3f167918, v104
	v_add_f32_e32 v105, v105, v109
	v_fmac_f32_e32 v101, 0xbf167918, v104
	v_fmac_f32_e32 v112, 0x3e9e377a, v105
	;; [unrolled: 1-line block ×3, first 2 shown]
	v_add_f32_e32 v105, v150, v154
	v_fma_f32 v105, -0.5, v105, v82
	s_waitcnt lgkmcnt(1)
	v_sub_f32_e32 v108, v147, v159
	v_mov_b32_e32 v109, v105
	v_fmac_f32_e32 v109, 0xbf737871, v108
	v_sub_f32_e32 v113, v151, v155
	v_sub_f32_e32 v116, v146, v150
	;; [unrolled: 1-line block ×3, first 2 shown]
	v_fmac_f32_e32 v105, 0x3f737871, v108
	v_fmac_f32_e32 v109, 0xbf167918, v113
	v_add_f32_e32 v116, v116, v117
	v_fmac_f32_e32 v105, 0x3f167918, v113
	v_fmac_f32_e32 v109, 0x3e9e377a, v116
	;; [unrolled: 1-line block ×3, first 2 shown]
	v_add_f32_e32 v116, v146, v158
	v_add_f32_e32 v104, v82, v146
	v_fma_f32 v82, -0.5, v116, v82
	v_add_f32_e32 v120, v120, v121
	v_mov_b32_e32 v117, v82
	v_fmac_f32_e32 v127, 0x3e9e377a, v120
	v_fmac_f32_e32 v100, 0x3e9e377a, v120
	;; [unrolled: 1-line block ×3, first 2 shown]
	v_sub_f32_e32 v116, v150, v146
	v_sub_f32_e32 v120, v154, v158
	v_fmac_f32_e32 v82, 0xbf737871, v113
	v_add_f32_e32 v113, v151, v155
	v_fmac_f32_e32 v117, 0xbf167918, v108
	v_add_f32_e32 v116, v116, v120
	v_fmac_f32_e32 v82, 0x3f167918, v108
	v_fma_f32 v113, -0.5, v113, v83
	v_fmac_f32_e32 v117, 0x3e9e377a, v116
	v_fmac_f32_e32 v82, 0x3e9e377a, v116
	v_sub_f32_e32 v116, v146, v158
	v_mov_b32_e32 v121, v113
	v_fmac_f32_e32 v121, 0x3f737871, v116
	v_sub_f32_e32 v120, v150, v154
	v_sub_f32_e32 v122, v147, v151
	;; [unrolled: 1-line block ×3, first 2 shown]
	v_fmac_f32_e32 v113, 0xbf737871, v116
	v_fmac_f32_e32 v121, 0x3f167918, v120
	v_add_f32_e32 v122, v122, v123
	v_fmac_f32_e32 v113, 0xbf167918, v120
	v_fmac_f32_e32 v121, 0x3e9e377a, v122
	;; [unrolled: 1-line block ×3, first 2 shown]
	v_add_f32_e32 v122, v147, v159
	v_add_f32_e32 v108, v83, v147
	v_fma_f32 v83, -0.5, v122, v83
	v_mov_b32_e32 v123, v83
	v_fmac_f32_e32 v123, 0xbf737871, v120
	v_sub_f32_e32 v122, v151, v147
	v_sub_f32_e32 v128, v155, v159
	v_fmac_f32_e32 v83, 0x3f737871, v120
	v_fmac_f32_e32 v123, 0x3f167918, v116
	v_add_f32_e32 v122, v122, v128
	v_fmac_f32_e32 v83, 0xbf167918, v116
	v_add_f32_e32 v108, v108, v151
	v_fmac_f32_e32 v123, 0x3e9e377a, v122
	v_fmac_f32_e32 v83, 0x3e9e377a, v122
	v_mov_b32_e32 v160, v142
	ds_read2_b64 v[88:91], v202 offset0:64 offset1:160
	ds_read2_b64 v[92:95], v203 offset1:96
	ds_read2_b64 v[96:99], v130 offset0:64 offset1:160
	ds_read2_b64 v[140:143], v143 offset0:128 offset1:224
	v_add_f32_e32 v108, v108, v155
	v_mul_f32_e32 v130, 0xbf737871, v123
	v_mul_f32_e32 v135, 0xbf737871, v83
	;; [unrolled: 1-line block ×4, first 2 shown]
	v_add_f32_e32 v108, v108, v159
	v_fmac_f32_e32 v130, 0x3e9e377a, v117
	v_fmac_f32_e32 v146, 0xbf4f1bbd, v105
	;; [unrolled: 1-line block ×3, first 2 shown]
	v_add_f32_e32 v104, v104, v150
	v_mul_f32_e32 v128, 0xbf167918, v121
	v_add_f32_e32 v120, v127, v130
	v_add_f32_e32 v116, v119, v146
	;; [unrolled: 1-line block ×3, first 2 shown]
	v_mul_f32_e32 v147, 0x3e9e377a, v123
	v_add_f32_e32 v123, v101, v83
	v_sub_f32_e32 v134, v127, v130
	v_sub_f32_e32 v130, v119, v146
	;; [unrolled: 1-line block ×4, first 2 shown]
	v_add_f32_e32 v83, v110, v114
	v_add_f32_e32 v104, v104, v154
	v_fmac_f32_e32 v128, 0x3f4f1bbd, v109
	v_fmac_f32_e32 v135, 0xbe9e377a, v82
	v_fma_f32 v83, -0.5, v83, v102
	v_add_f32_e32 v104, v104, v158
	v_add_f32_e32 v138, v126, v128
	;; [unrolled: 1-line block ×3, first 2 shown]
	v_mul_f32_e32 v82, 0xbf4f1bbd, v113
	v_sub_f32_e32 v132, v126, v128
	v_sub_f32_e32 v128, v100, v135
	;; [unrolled: 1-line block ×3, first 2 shown]
	v_mov_b32_e32 v101, v83
	v_add_f32_e32 v136, v118, v104
	v_fmac_f32_e32 v82, 0x3f167918, v105
	v_sub_f32_e32 v118, v118, v104
	v_fmac_f32_e32 v101, 0xbf737871, v100
	v_sub_f32_e32 v104, v111, v115
	v_sub_f32_e32 v105, v106, v110
	;; [unrolled: 1-line block ×3, first 2 shown]
	v_fmac_f32_e32 v83, 0x3f737871, v100
	v_fmac_f32_e32 v101, 0xbf167918, v104
	v_add_f32_e32 v105, v105, v108
	v_fmac_f32_e32 v83, 0x3f167918, v104
	v_mul_f32_e32 v109, 0x3f167918, v109
	v_fmac_f32_e32 v101, 0x3e9e377a, v105
	v_fmac_f32_e32 v83, 0x3e9e377a, v105
	v_add_f32_e32 v105, v106, v124
	v_fmac_f32_e32 v109, 0x3f4f1bbd, v121
	v_fmac_f32_e32 v147, 0x3f737871, v117
	v_add_f32_e32 v117, v131, v82
	v_sub_f32_e32 v131, v131, v82
	v_add_f32_e32 v82, v102, v106
	v_fma_f32 v102, -0.5, v105, v102
	v_add_f32_e32 v139, v133, v109
	v_sub_f32_e32 v133, v133, v109
	v_mov_b32_e32 v109, v102
	v_fmac_f32_e32 v109, 0x3f737871, v104
	v_fmac_f32_e32 v102, 0xbf737871, v104
	;; [unrolled: 1-line block ×4, first 2 shown]
	v_add_f32_e32 v100, v103, v107
	v_add_f32_e32 v100, v100, v111
	;; [unrolled: 1-line block ×6, first 2 shown]
	v_sub_f32_e32 v135, v112, v147
	v_sub_f32_e32 v105, v110, v106
	;; [unrolled: 1-line block ×3, first 2 shown]
	v_fma_f32 v147, -0.5, v100, v103
	v_add_f32_e32 v105, v105, v108
	v_sub_f32_e32 v100, v106, v124
	v_mov_b32_e32 v150, v147
	v_fmac_f32_e32 v109, 0x3e9e377a, v105
	v_fmac_f32_e32 v102, 0x3e9e377a, v105
	;; [unrolled: 1-line block ×3, first 2 shown]
	v_sub_f32_e32 v104, v110, v114
	v_sub_f32_e32 v105, v107, v111
	v_sub_f32_e32 v106, v125, v115
	v_fmac_f32_e32 v147, 0xbf737871, v100
	v_fmac_f32_e32 v150, 0x3f167918, v104
	v_add_f32_e32 v105, v105, v106
	v_fmac_f32_e32 v147, 0xbf167918, v104
	v_fmac_f32_e32 v150, 0x3e9e377a, v105
	;; [unrolled: 1-line block ×3, first 2 shown]
	v_add_f32_e32 v105, v107, v125
	v_fmac_f32_e32 v103, -0.5, v105
	v_mov_b32_e32 v151, v103
	v_fmac_f32_e32 v151, 0xbf737871, v104
	v_sub_f32_e32 v105, v111, v107
	v_sub_f32_e32 v106, v115, v125
	v_fmac_f32_e32 v103, 0x3f737871, v104
	v_fmac_f32_e32 v151, 0x3f167918, v100
	v_add_f32_e32 v105, v105, v106
	v_fmac_f32_e32 v103, 0xbf167918, v100
	s_waitcnt lgkmcnt(1)
	v_add_f32_e32 v104, v92, v96
	v_fmac_f32_e32 v151, 0x3e9e377a, v105
	v_fmac_f32_e32 v103, 0x3e9e377a, v105
	v_fma_f32 v105, -0.5, v104, v84
	s_waitcnt lgkmcnt(0)
	v_sub_f32_e32 v104, v89, v141
	v_mov_b32_e32 v106, v105
	v_add_f32_e32 v82, v82, v110
	v_fmac_f32_e32 v106, 0xbf737871, v104
	v_sub_f32_e32 v107, v93, v97
	v_sub_f32_e32 v108, v88, v92
	;; [unrolled: 1-line block ×3, first 2 shown]
	v_fmac_f32_e32 v105, 0x3f737871, v104
	v_fmac_f32_e32 v106, 0xbf167918, v107
	v_add_f32_e32 v108, v108, v110
	v_fmac_f32_e32 v105, 0x3f167918, v107
	v_fmac_f32_e32 v106, 0x3e9e377a, v108
	;; [unrolled: 1-line block ×3, first 2 shown]
	v_add_f32_e32 v108, v88, v140
	v_add_f32_e32 v100, v84, v88
	v_fma_f32 v84, -0.5, v108, v84
	v_mov_b32_e32 v108, v84
	v_fmac_f32_e32 v108, 0x3f737871, v107
	v_fmac_f32_e32 v84, 0xbf737871, v107
	;; [unrolled: 1-line block ×4, first 2 shown]
	v_add_f32_e32 v104, v85, v89
	v_add_f32_e32 v104, v104, v93
	v_sub_f32_e32 v110, v92, v88
	v_sub_f32_e32 v111, v96, v140
	v_add_f32_e32 v104, v104, v97
	v_add_f32_e32 v110, v110, v111
	v_add_f32_e32 v107, v104, v141
	v_add_f32_e32 v104, v93, v97
	v_fmac_f32_e32 v108, 0x3e9e377a, v110
	v_fmac_f32_e32 v84, 0x3e9e377a, v110
	v_fma_f32 v110, -0.5, v104, v85
	v_add_f32_e32 v100, v100, v92
	v_sub_f32_e32 v88, v88, v140
	v_mov_b32_e32 v111, v110
	v_add_f32_e32 v100, v100, v96
	v_fmac_f32_e32 v111, 0x3f737871, v88
	v_sub_f32_e32 v92, v92, v96
	v_sub_f32_e32 v96, v89, v93
	;; [unrolled: 1-line block ×3, first 2 shown]
	v_fmac_f32_e32 v110, 0xbf737871, v88
	v_fmac_f32_e32 v111, 0x3f167918, v92
	v_add_f32_e32 v96, v96, v104
	v_fmac_f32_e32 v110, 0xbf167918, v92
	v_fmac_f32_e32 v111, 0x3e9e377a, v96
	;; [unrolled: 1-line block ×3, first 2 shown]
	v_add_f32_e32 v96, v89, v141
	v_fma_f32 v85, -0.5, v96, v85
	v_mov_b32_e32 v96, v85
	v_sub_f32_e32 v89, v93, v89
	v_sub_f32_e32 v93, v97, v141
	v_fmac_f32_e32 v85, 0x3f737871, v92
	v_add_f32_e32 v89, v89, v93
	v_fmac_f32_e32 v85, 0xbf167918, v88
	v_fmac_f32_e32 v85, 0x3e9e377a, v89
	v_add_f32_e32 v82, v82, v114
	v_fmac_f32_e32 v96, 0xbf737871, v92
	v_mul_f32_e32 v92, 0xbf737871, v85
	v_mul_f32_e32 v93, 0xbf167918, v110
	v_add_f32_e32 v82, v82, v124
	v_add_f32_e32 v100, v100, v140
	v_fmac_f32_e32 v96, 0x3f167918, v88
	v_mul_f32_e32 v88, 0xbf167918, v111
	v_fmac_f32_e32 v92, 0xbe9e377a, v84
	v_fmac_f32_e32 v93, 0xbf4f1bbd, v105
	v_mul_f32_e32 v85, 0xbe9e377a, v85
	v_fmac_f32_e32 v96, 0x3e9e377a, v89
	v_add_f32_e32 v124, v82, v100
	v_fmac_f32_e32 v88, 0x3f4f1bbd, v106
	v_add_f32_e32 v114, v102, v92
	v_add_f32_e32 v104, v83, v93
	v_mul_f32_e32 v97, 0x3f167918, v106
	v_fmac_f32_e32 v85, 0x3f737871, v84
	v_mul_f32_e32 v84, 0xbf4f1bbd, v110
	v_sub_f32_e32 v106, v82, v100
	v_sub_f32_e32 v100, v102, v92
	;; [unrolled: 1-line block ×3, first 2 shown]
	v_add_f32_e32 v83, v148, v152
	v_mul_f32_e32 v89, 0xbf737871, v96
	v_mul_f32_e32 v96, 0x3e9e377a, v96
	v_fmac_f32_e32 v84, 0x3f167918, v105
	v_fma_f32 v83, -0.5, v83, v80
	v_add_f32_e32 v126, v101, v88
	v_fmac_f32_e32 v89, 0x3e9e377a, v108
	v_fmac_f32_e32 v96, 0x3f737871, v108
	v_add_f32_e32 v115, v103, v85
	v_add_f32_e32 v105, v147, v84
	v_sub_f32_e32 v108, v101, v88
	v_sub_f32_e32 v101, v103, v85
	;; [unrolled: 1-line block ×4, first 2 shown]
	v_mov_b32_e32 v88, v83
	v_add_f32_e32 v112, v109, v89
	v_sub_f32_e32 v110, v109, v89
	v_fmac_f32_e32 v88, 0xbf737871, v84
	v_sub_f32_e32 v85, v149, v153
	v_sub_f32_e32 v89, v144, v148
	v_sub_f32_e32 v92, v156, v152
	v_fmac_f32_e32 v83, 0x3f737871, v84
	v_fmac_f32_e32 v88, 0xbf167918, v85
	v_add_f32_e32 v89, v89, v92
	v_fmac_f32_e32 v83, 0x3f167918, v85
	v_fmac_f32_e32 v88, 0x3e9e377a, v89
	v_fmac_f32_e32 v83, 0x3e9e377a, v89
	v_add_f32_e32 v89, v144, v156
	v_add_f32_e32 v82, v80, v144
	v_fma_f32 v80, -0.5, v89, v80
	v_mov_b32_e32 v89, v80
	v_fmac_f32_e32 v89, 0x3f737871, v85
	v_fmac_f32_e32 v80, 0xbf737871, v85
	;; [unrolled: 1-line block ×4, first 2 shown]
	v_add_f32_e32 v84, v81, v145
	v_add_f32_e32 v84, v84, v149
	;; [unrolled: 1-line block ×5, first 2 shown]
	v_sub_f32_e32 v92, v148, v144
	v_sub_f32_e32 v93, v152, v156
	v_fma_f32 v141, -0.5, v84, v81
	v_add_f32_e32 v92, v92, v93
	v_sub_f32_e32 v84, v144, v156
	v_mov_b32_e32 v144, v141
	v_fmac_f32_e32 v89, 0x3e9e377a, v92
	v_fmac_f32_e32 v80, 0x3e9e377a, v92
	;; [unrolled: 1-line block ×3, first 2 shown]
	v_sub_f32_e32 v85, v148, v152
	v_sub_f32_e32 v92, v145, v149
	;; [unrolled: 1-line block ×3, first 2 shown]
	v_fmac_f32_e32 v141, 0xbf737871, v84
	v_fmac_f32_e32 v144, 0x3f167918, v85
	v_add_f32_e32 v92, v92, v93
	v_fmac_f32_e32 v141, 0xbf167918, v85
	v_fmac_f32_e32 v144, 0x3e9e377a, v92
	;; [unrolled: 1-line block ×3, first 2 shown]
	v_add_f32_e32 v92, v145, v157
	v_fmac_f32_e32 v81, -0.5, v92
	v_add_f32_e32 v125, v146, v107
	v_sub_f32_e32 v107, v146, v107
	v_mov_b32_e32 v146, v81
	v_fmac_f32_e32 v146, 0xbf737871, v85
	v_fmac_f32_e32 v81, 0x3f737871, v85
	;; [unrolled: 1-line block ×4, first 2 shown]
	v_add_f32_e32 v84, v86, v90
	v_add_f32_e32 v84, v84, v94
	;; [unrolled: 1-line block ×3, first 2 shown]
	v_sub_f32_e32 v92, v149, v145
	v_add_f32_e32 v145, v84, v142
	v_add_f32_e32 v84, v94, v98
	v_sub_f32_e32 v93, v153, v157
	v_fma_f32 v85, -0.5, v84, v86
	v_fmac_f32_e32 v97, 0x3f4f1bbd, v111
	v_add_f32_e32 v92, v92, v93
	v_sub_f32_e32 v84, v91, v143
	v_mov_b32_e32 v93, v85
	v_add_f32_e32 v127, v150, v97
	v_add_f32_e32 v113, v151, v96
	v_sub_f32_e32 v109, v150, v97
	v_sub_f32_e32 v111, v151, v96
	v_fmac_f32_e32 v146, 0x3e9e377a, v92
	v_fmac_f32_e32 v81, 0x3e9e377a, v92
	;; [unrolled: 1-line block ×3, first 2 shown]
	v_sub_f32_e32 v92, v95, v99
	v_sub_f32_e32 v96, v90, v94
	;; [unrolled: 1-line block ×3, first 2 shown]
	v_fmac_f32_e32 v85, 0x3f737871, v84
	v_fmac_f32_e32 v93, 0xbf167918, v92
	v_add_f32_e32 v96, v96, v97
	v_fmac_f32_e32 v85, 0x3f167918, v92
	v_fmac_f32_e32 v93, 0x3e9e377a, v96
	;; [unrolled: 1-line block ×3, first 2 shown]
	v_add_f32_e32 v96, v90, v142
	v_fma_f32 v86, -0.5, v96, v86
	v_mov_b32_e32 v147, v86
	v_fmac_f32_e32 v147, 0x3f737871, v92
	v_fmac_f32_e32 v86, 0xbf737871, v92
	;; [unrolled: 1-line block ×4, first 2 shown]
	v_add_f32_e32 v84, v87, v91
	v_add_f32_e32 v84, v84, v95
	;; [unrolled: 1-line block ×6, first 2 shown]
	v_sub_f32_e32 v96, v94, v90
	v_sub_f32_e32 v97, v98, v142
	v_fma_f32 v149, -0.5, v84, v87
	v_add_f32_e32 v96, v96, v97
	v_sub_f32_e32 v84, v90, v142
	v_mov_b32_e32 v90, v149
	v_fmac_f32_e32 v147, 0x3e9e377a, v96
	v_fmac_f32_e32 v86, 0x3e9e377a, v96
	;; [unrolled: 1-line block ×3, first 2 shown]
	v_sub_f32_e32 v92, v94, v98
	v_sub_f32_e32 v94, v91, v95
	;; [unrolled: 1-line block ×3, first 2 shown]
	v_fmac_f32_e32 v149, 0xbf737871, v84
	v_fmac_f32_e32 v90, 0x3f167918, v92
	v_add_f32_e32 v94, v94, v96
	v_fmac_f32_e32 v149, 0xbf167918, v92
	v_fmac_f32_e32 v90, 0x3e9e377a, v94
	;; [unrolled: 1-line block ×3, first 2 shown]
	v_add_f32_e32 v94, v91, v143
	v_fmac_f32_e32 v87, -0.5, v94
	v_mov_b32_e32 v142, v87
	v_fmac_f32_e32 v142, 0xbf737871, v92
	v_sub_f32_e32 v91, v95, v91
	v_sub_f32_e32 v94, v99, v143
	v_fmac_f32_e32 v142, 0x3f167918, v84
	v_add_f32_e32 v91, v91, v94
	v_fmac_f32_e32 v87, 0x3f737871, v92
	v_fmac_f32_e32 v142, 0x3e9e377a, v91
	;; [unrolled: 1-line block ×4, first 2 shown]
	v_mul_f32_e32 v143, 0xbf737871, v142
	v_mul_f32_e32 v142, 0x3e9e377a, v142
	v_fmac_f32_e32 v143, 0x3e9e377a, v147
	v_mul_f32_e32 v150, 0xbf737871, v87
	v_add_f32_e32 v97, v140, v148
	v_fmac_f32_e32 v142, 0x3f737871, v147
	v_mul_f32_e32 v147, 0xbe9e377a, v87
	v_sub_f32_e32 v87, v140, v148
	s_barrier
	buffer_load_dword v140, off, s[24:27], 0 offset:456 ; 4-byte Folded Reload
	s_waitcnt vmcnt(0)
	ds_write_b128 v140, v[136:139]
	ds_write_b128 v140, v[120:123] offset:16
	ds_write_b128 v140, v[116:119] offset:32
	;; [unrolled: 1-line block ×4, first 2 shown]
	buffer_load_dword v116, off, s[24:27], 0 offset:452 ; 4-byte Folded Reload
	s_waitcnt vmcnt(0)
	ds_write_b128 v116, v[124:127]
	ds_write_b128 v116, v[112:115] offset:16
	ds_write_b128 v116, v[104:107] offset:32
	;; [unrolled: 1-line block ×4, first 2 shown]
	buffer_load_dword v100, off, s[24:27], 0 offset:448 ; 4-byte Folded Reload
	v_add_f32_e32 v82, v82, v152
	v_mul_f32_e32 v91, 0xbf167918, v90
	v_mul_f32_e32 v151, 0xbf167918, v149
	;; [unrolled: 1-line block ×4, first 2 shown]
	v_add_f32_e32 v82, v82, v156
	v_fmac_f32_e32 v91, 0x3f4f1bbd, v93
	v_fmac_f32_e32 v150, 0xbe9e377a, v86
	;; [unrolled: 1-line block ×6, first 2 shown]
	v_add_f32_e32 v96, v82, v145
	v_add_f32_e32 v98, v88, v91
	v_add_f32_e32 v92, v89, v143
	v_add_f32_e32 v94, v80, v150
	v_add_f32_e32 v84, v83, v151
	v_add_f32_e32 v99, v144, v152
	v_add_f32_e32 v95, v81, v147
	v_sub_f32_e32 v86, v82, v145
	v_sub_f32_e32 v88, v88, v91
	;; [unrolled: 1-line block ×9, first 2 shown]
	v_add_u32_e32 v156, 0x2800, v167
	v_add_f32_e32 v93, v146, v142
	v_add_f32_e32 v85, v141, v149
	s_waitcnt vmcnt(0)
	ds_write_b128 v100, v[96:99]
	ds_write_b128 v100, v[92:95] offset:16
	ds_write_b128 v100, v[84:87] offset:32
	;; [unrolled: 1-line block ×4, first 2 shown]
	s_waitcnt lgkmcnt(0)
	s_barrier
	ds_read2_b64 v[88:91], v167 offset1:96
	ds_read2_b64 v[80:83], v160 offset0:128 offset1:224
	ds_read2_b64 v[97:100], v202 offset0:64 offset1:160
	;; [unrolled: 1-line block ×3, first 2 shown]
	v_add_u32_e32 v153, 0x3800, v167
	ds_read2_b64 v[105:108], v153 offset0:128 offset1:224
	ds_read2_b64 v[119:122], v181 offset1:96
	v_add_u32_e32 v148, 0x1000, v167
	ds_read2_b64 v[109:112], v148 offset0:64 offset1:160
	ds_read2_b64 v[113:116], v203 offset1:96
	v_mov_b32_e32 v155, v160
	v_add_u32_e32 v160, 0x4c00, v167
	s_waitcnt lgkmcnt(6)
	v_mul_f32_e32 v92, v45, v83
	ds_read2_b64 v[123:126], v160 offset0:64 offset1:160
	ds_read2_b64 v[84:87], v0 offset0:64 offset1:160
	;; [unrolled: 1-line block ×3, first 2 shown]
	v_fmac_f32_e32 v92, v44, v82
	v_mul_f32_e32 v45, v45, v82
	s_waitcnt lgkmcnt(7)
	v_mul_f32_e32 v82, v41, v104
	v_mul_f32_e32 v41, v41, v103
	v_fma_f32 v45, v44, v83, -v45
	v_mul_f32_e32 v95, v47, v98
	v_mul_f32_e32 v44, v47, v97
	v_fmac_f32_e32 v82, v40, v103
	v_fma_f32 v83, v40, v104, -v41
	s_waitcnt lgkmcnt(6)
	v_mul_f32_e32 v96, v43, v106
	v_mul_f32_e32 v40, v43, v105
	v_fmac_f32_e32 v95, v46, v97
	v_fma_f32 v97, v46, v98, -v44
	v_fmac_f32_e32 v96, v42, v105
	v_fma_f32 v98, v42, v106, -v40
	v_mul_f32_e32 v42, v67, v99
	v_add_u32_e32 v152, 0x4000, v167
	v_fma_f32 v46, v66, v100, -v42
	s_waitcnt lgkmcnt(3)
	v_mul_f32_e32 v42, v57, v114
	v_mul_f32_e32 v43, v57, v113
	s_waitcnt lgkmcnt(2)
	v_mul_f32_e32 v57, v207, v123
	ds_read2_b64 v[131:134], v152 offset0:64 offset1:160
	ds_read2_b64 v[135:138], v1 offset1:96
	ds_read2_b64 v[139:142], v2 offset0:64 offset1:160
	v_fma_f32 v117, v206, v124, -v57
	v_mul_f32_e32 v57, v53, v112
	v_mul_f32_e32 v53, v53, v111
	v_fmac_f32_e32 v42, v56, v113
	v_fma_f32 v43, v56, v114, -v43
	v_mul_f32_e32 v47, v59, v108
	v_mul_f32_e32 v56, v59, v107
	v_fmac_f32_e32 v57, v52, v111
	v_fma_f32 v52, v52, v112, -v53
	s_waitcnt lgkmcnt(3)
	v_mul_f32_e32 v53, v55, v127
	v_fmac_f32_e32 v47, v58, v107
	v_fma_f32 v56, v58, v108, -v56
	v_mul_f32_e32 v58, v55, v128
	v_fma_f32 v55, v54, v128, -v53
	v_mul_f32_e32 v53, v49, v116
	v_mul_f32_e32 v49, v49, v115
	;; [unrolled: 1-line block ×3, first 2 shown]
	v_fmac_f32_e32 v58, v54, v127
	v_fmac_f32_e32 v53, v48, v115
	v_fma_f32 v54, v48, v116, -v49
	s_waitcnt lgkmcnt(2)
	v_mul_f32_e32 v48, v51, v131
	v_fma_f32 v94, v200, v122, -v40
	v_mul_f32_e32 v40, v65, v110
	v_mul_f32_e32 v41, v65, v109
	v_fma_f32 v65, v50, v132, -v48
	v_mul_f32_e32 v48, v205, v125
	v_fma_f32 v118, v204, v126, -v48
	s_waitcnt lgkmcnt(1)
	v_mul_f32_e32 v48, v69, v136
	v_mul_f32_e32 v49, v69, v135
	v_fmac_f32_e32 v48, v68, v135
	v_fma_f32 v49, v68, v136, -v49
	v_mul_f32_e32 v68, v77, v137
	v_add_u32_e32 v150, 0x5000, v167
	v_fmac_f32_e32 v40, v64, v109
	v_fma_f32 v109, v76, v138, -v68
	v_mul_f32_e32 v68, v79, v101
	ds_read2_b64 v[143:146], v150 offset0:128 offset1:224
	v_fma_f32 v41, v64, v110, -v41
	v_fma_f32 v114, v78, v102, -v68
	s_waitcnt lgkmcnt(1)
	v_mul_f32_e32 v110, v73, v142
	v_mul_f32_e32 v68, v73, v141
	;; [unrolled: 1-line block ×3, first 2 shown]
	v_fmac_f32_e32 v110, v72, v141
	v_fma_f32 v111, v72, v142, -v68
	v_add_f32_e32 v72, v97, v98
	v_fmac_f32_e32 v93, v200, v121
	v_mul_f32_e32 v115, v75, v120
	v_mul_f32_e32 v68, v75, v119
	v_fma_f32 v72, -0.5, v72, v89
	v_fmac_f32_e32 v115, v74, v119
	v_fma_f32 v116, v74, v120, -v68
	v_sub_f32_e32 v73, v95, v96
	v_mov_b32_e32 v74, v72
	v_add_f32_e32 v75, v82, v93
	v_mul_f32_e32 v64, v51, v132
	v_mul_f32_e32 v108, v77, v138
	v_add_f32_e32 v69, v95, v96
	v_fmac_f32_e32 v74, 0x3f5db3d7, v73
	v_fmac_f32_e32 v72, 0xbf5db3d7, v73
	v_add_f32_e32 v73, v92, v82
	v_fmac_f32_e32 v92, -0.5, v75
	v_fmac_f32_e32 v64, v50, v131
	v_mul_f32_e32 v59, v71, v130
	v_mul_f32_e32 v50, v71, v129
	v_fmac_f32_e32 v108, v76, v137
	s_waitcnt lgkmcnt(0)
	v_mul_f32_e32 v68, v227, v145
	v_fma_f32 v69, -0.5, v69, v88
	v_sub_f32_e32 v75, v83, v94
	v_mov_b32_e32 v76, v92
	v_add_f32_e32 v77, v83, v94
	v_mul_f32_e32 v44, v67, v100
	v_fmac_f32_e32 v59, v70, v129
	v_fma_f32 v112, v70, v130, -v50
	v_mul_f32_e32 v113, v79, v102
	v_fma_f32 v120, v226, v146, -v68
	v_add_f32_e32 v68, v88, v95
	v_sub_f32_e32 v70, v97, v98
	v_mov_b32_e32 v71, v69
	v_fmac_f32_e32 v76, 0xbf5db3d7, v75
	v_fmac_f32_e32 v92, 0x3f5db3d7, v75
	v_add_f32_e32 v75, v45, v83
	v_fmac_f32_e32 v45, -0.5, v77
	v_sub_f32_e32 v77, v82, v93
	v_fmac_f32_e32 v44, v66, v99
	v_fmac_f32_e32 v113, v78, v101
	v_add_f32_e32 v68, v68, v96
	v_fmac_f32_e32 v71, 0xbf5db3d7, v70
	v_fmac_f32_e32 v69, 0x3f5db3d7, v70
	v_add_f32_e32 v70, v89, v97
	v_add_f32_e32 v73, v73, v93
	v_mov_b32_e32 v78, v45
	v_fmac_f32_e32 v45, 0xbf5db3d7, v77
	v_add_f32_e32 v70, v70, v98
	v_add_f32_e32 v98, v68, v73
	v_mul_f32_e32 v79, 0xbf5db3d7, v45
	v_sub_f32_e32 v106, v68, v73
	v_add_f32_e32 v68, v44, v47
	v_add_f32_e32 v75, v75, v94
	v_fmac_f32_e32 v79, -0.5, v92
	v_fma_f32 v68, -0.5, v68, v90
	v_add_f32_e32 v96, v69, v79
	v_add_f32_e32 v99, v70, v75
	v_mul_f32_e32 v45, -0.5, v45
	v_sub_f32_e32 v104, v69, v79
	v_sub_f32_e32 v107, v70, v75
	;; [unrolled: 1-line block ×3, first 2 shown]
	v_mov_b32_e32 v70, v68
	v_mul_f32_e32 v66, v207, v124
	v_fmac_f32_e32 v45, 0x3f5db3d7, v92
	v_fmac_f32_e32 v70, 0xbf5db3d7, v69
	;; [unrolled: 1-line block ×3, first 2 shown]
	v_add_f32_e32 v69, v91, v46
	v_add_f32_e32 v46, v46, v56
	v_fmac_f32_e32 v66, v206, v123
	v_add_f32_e32 v97, v72, v45
	v_sub_f32_e32 v105, v72, v45
	v_add_f32_e32 v45, v90, v44
	v_fmac_f32_e32 v91, -0.5, v46
	v_add_f32_e32 v45, v45, v47
	v_sub_f32_e32 v44, v44, v47
	v_mov_b32_e32 v46, v91
	v_add_f32_e32 v47, v42, v66
	v_fmac_f32_e32 v46, 0x3f5db3d7, v44
	v_fmac_f32_e32 v91, 0xbf5db3d7, v44
	v_add_f32_e32 v44, v40, v42
	v_fmac_f32_e32 v40, -0.5, v47
	v_add_f32_e32 v69, v69, v56
	v_sub_f32_e32 v47, v43, v117
	v_mov_b32_e32 v56, v40
	v_fmac_f32_e32 v56, 0xbf5db3d7, v47
	v_fmac_f32_e32 v40, 0x3f5db3d7, v47
	v_add_f32_e32 v47, v41, v43
	v_add_f32_e32 v43, v43, v117
	v_fmac_f32_e32 v41, -0.5, v43
	v_sub_f32_e32 v42, v42, v66
	v_mov_b32_e32 v43, v41
	v_fmac_f32_e32 v41, 0xbf5db3d7, v42
	v_fmac_f32_e32 v78, 0x3f5db3d7, v77
	v_add_f32_e32 v44, v44, v66
	v_fmac_f32_e32 v43, 0x3f5db3d7, v42
	v_mul_f32_e32 v66, 0xbf5db3d7, v41
	v_mul_f32_e32 v41, -0.5, v41
	v_mul_f32_e32 v67, v205, v126
	v_mul_f32_e32 v77, 0xbf5db3d7, v78
	v_add_f32_e32 v92, v45, v44
	v_mul_f32_e32 v42, 0xbf5db3d7, v43
	v_mul_f32_e32 v43, 0.5, v43
	v_fmac_f32_e32 v41, 0x3f5db3d7, v40
	v_sub_f32_e32 v88, v45, v44
	v_add_f32_e32 v44, v55, v65
	v_fmac_f32_e32 v67, v204, v125
	v_fmac_f32_e32 v77, 0.5, v76
	v_add_f32_e32 v47, v47, v117
	v_fmac_f32_e32 v43, 0x3f5db3d7, v56
	v_add_f32_e32 v83, v91, v41
	v_sub_f32_e32 v79, v91, v41
	v_add_f32_e32 v41, v58, v64
	v_fma_f32 v44, -0.5, v44, v85
	v_add_f32_e32 v102, v71, v77
	v_mul_f32_e32 v78, 0.5, v78
	v_sub_f32_e32 v100, v71, v77
	v_fmac_f32_e32 v42, 0.5, v56
	v_add_f32_e32 v93, v69, v47
	v_add_f32_e32 v95, v46, v43
	v_sub_f32_e32 v89, v69, v47
	v_sub_f32_e32 v77, v46, v43
	v_fma_f32 v41, -0.5, v41, v84
	v_sub_f32_e32 v45, v58, v64
	v_mov_b32_e32 v46, v44
	v_add_f32_e32 v47, v53, v67
	v_fmac_f32_e32 v78, 0x3f5db3d7, v76
	v_add_f32_e32 v94, v70, v42
	v_sub_f32_e32 v76, v70, v42
	v_sub_f32_e32 v42, v55, v65
	v_mov_b32_e32 v43, v41
	v_fmac_f32_e32 v46, 0x3f5db3d7, v45
	v_fmac_f32_e32 v44, 0xbf5db3d7, v45
	v_add_f32_e32 v45, v57, v53
	v_fmac_f32_e32 v57, -0.5, v47
	v_fmac_f32_e32 v43, 0xbf5db3d7, v42
	v_fmac_f32_e32 v41, 0x3f5db3d7, v42
	v_add_f32_e32 v42, v85, v55
	v_sub_f32_e32 v47, v54, v118
	v_mov_b32_e32 v55, v57
	v_fmac_f32_e32 v55, 0xbf5db3d7, v47
	v_fmac_f32_e32 v57, 0x3f5db3d7, v47
	v_add_f32_e32 v47, v52, v54
	v_add_f32_e32 v54, v54, v118
	v_fmac_f32_e32 v52, -0.5, v54
	v_sub_f32_e32 v53, v53, v67
	v_mul_f32_e32 v50, v61, v140
	v_mul_f32_e32 v51, v61, v139
	v_mov_b32_e32 v54, v52
	v_fmac_f32_e32 v52, 0xbf5db3d7, v53
	v_fmac_f32_e32 v50, v60, v139
	v_fma_f32 v51, v60, v140, -v51
	v_mul_f32_e32 v60, v63, v134
	v_mul_f32_e32 v56, 0xbf5db3d7, v52
	v_fmac_f32_e32 v60, v62, v133
	v_fmac_f32_e32 v66, -0.5, v40
	v_fmac_f32_e32 v54, 0x3f5db3d7, v53
	v_fmac_f32_e32 v56, -0.5, v57
	v_mul_f32_e32 v61, v63, v133
	v_add_f32_e32 v103, v74, v78
	v_sub_f32_e32 v101, v74, v78
	v_add_f32_e32 v82, v68, v66
	v_sub_f32_e32 v78, v68, v66
	v_mul_f32_e32 v53, 0xbf5db3d7, v54
	v_add_f32_e32 v68, v41, v56
	v_mul_f32_e32 v52, -0.5, v52
	v_sub_f32_e32 v66, v41, v56
	v_add_f32_e32 v41, v59, v60
	v_fma_f32 v61, v62, v134, -v61
	v_add_f32_e32 v40, v84, v58
	v_add_f32_e32 v42, v42, v65
	;; [unrolled: 1-line block ×3, first 2 shown]
	v_fmac_f32_e32 v53, 0.5, v55
	v_fmac_f32_e32 v52, 0x3f5db3d7, v57
	v_fma_f32 v41, -0.5, v41, v86
	v_mul_f32_e32 v62, v195, v144
	v_add_f32_e32 v40, v40, v64
	v_add_f32_e32 v45, v45, v67
	;; [unrolled: 1-line block ×4, first 2 shown]
	v_mul_f32_e32 v54, 0.5, v54
	v_add_f32_e32 v69, v44, v52
	v_sub_f32_e32 v64, v43, v53
	v_sub_f32_e32 v71, v42, v47
	;; [unrolled: 1-line block ×4, first 2 shown]
	v_mov_b32_e32 v43, v41
	v_add_f32_e32 v44, v112, v61
	v_fmac_f32_e32 v62, v194, v143
	v_fmac_f32_e32 v54, 0x3f5db3d7, v55
	;; [unrolled: 1-line block ×4, first 2 shown]
	v_add_f32_e32 v42, v87, v112
	v_fmac_f32_e32 v87, -0.5, v44
	v_mul_f32_e32 v63, v195, v143
	v_add_f32_e32 v72, v40, v45
	v_add_f32_e32 v75, v46, v54
	v_sub_f32_e32 v70, v40, v45
	v_sub_f32_e32 v65, v46, v54
	;; [unrolled: 1-line block ×3, first 2 shown]
	v_mov_b32_e32 v45, v87
	v_add_f32_e32 v46, v50, v62
	v_fma_f32 v63, v194, v144, -v63
	v_fmac_f32_e32 v45, 0x3f5db3d7, v44
	v_fmac_f32_e32 v87, 0xbf5db3d7, v44
	v_add_f32_e32 v44, v48, v50
	v_fmac_f32_e32 v48, -0.5, v46
	v_sub_f32_e32 v46, v51, v63
	v_mov_b32_e32 v47, v48
	v_fmac_f32_e32 v47, 0xbf5db3d7, v46
	v_fmac_f32_e32 v48, 0x3f5db3d7, v46
	v_add_f32_e32 v46, v49, v51
	v_add_f32_e32 v51, v51, v63
	v_fmac_f32_e32 v49, -0.5, v51
	v_sub_f32_e32 v50, v50, v62
	v_mov_b32_e32 v51, v49
	v_fmac_f32_e32 v49, 0xbf5db3d7, v50
	v_mul_f32_e32 v53, 0xbf5db3d7, v49
	v_fmac_f32_e32 v51, 0x3f5db3d7, v50
	v_fmac_f32_e32 v53, -0.5, v48
	v_mul_f32_e32 v50, 0xbf5db3d7, v51
	v_add_f32_e32 v56, v41, v53
	v_sub_f32_e32 v54, v41, v53
	v_add_f32_e32 v41, v113, v115
	v_add_f32_e32 v42, v42, v61
	;; [unrolled: 1-line block ×3, first 2 shown]
	v_fmac_f32_e32 v50, 0.5, v47
	v_mul_f32_e32 v51, 0.5, v51
	v_fma_f32 v41, -0.5, v41, v80
	v_add_f32_e32 v40, v86, v59
	v_add_f32_e32 v44, v44, v62
	;; [unrolled: 1-line block ×4, first 2 shown]
	v_fmac_f32_e32 v51, 0x3f5db3d7, v47
	v_mul_f32_e32 v47, -0.5, v49
	v_sub_f32_e32 v52, v43, v50
	v_sub_f32_e32 v59, v42, v46
	;; [unrolled: 1-line block ×3, first 2 shown]
	v_mov_b32_e32 v43, v41
	v_fmac_f32_e32 v47, 0x3f5db3d7, v48
	v_fmac_f32_e32 v43, 0xbf5db3d7, v42
	;; [unrolled: 1-line block ×3, first 2 shown]
	v_add_f32_e32 v42, v81, v114
	v_mul_f32_e32 v119, v227, v146
	v_add_f32_e32 v57, v87, v47
	v_sub_f32_e32 v55, v87, v47
	v_add_f32_e32 v47, v42, v116
	v_add_f32_e32 v42, v114, v116
	v_fmac_f32_e32 v119, v226, v145
	v_add_f32_e32 v40, v40, v60
	v_fmac_f32_e32 v81, -0.5, v42
	v_add_f32_e32 v60, v40, v44
	v_sub_f32_e32 v58, v40, v44
	v_add_f32_e32 v40, v80, v113
	v_sub_f32_e32 v42, v113, v115
	v_mov_b32_e32 v80, v81
	v_add_f32_e32 v44, v110, v119
	v_fmac_f32_e32 v80, 0x3f5db3d7, v42
	v_fmac_f32_e32 v81, 0xbf5db3d7, v42
	v_add_f32_e32 v42, v108, v110
	v_fmac_f32_e32 v108, -0.5, v44
	v_add_f32_e32 v63, v45, v51
	v_sub_f32_e32 v53, v45, v51
	v_sub_f32_e32 v44, v111, v120
	v_mov_b32_e32 v45, v108
	v_fmac_f32_e32 v45, 0xbf5db3d7, v44
	v_fmac_f32_e32 v108, 0x3f5db3d7, v44
	v_add_f32_e32 v44, v109, v111
	v_add_f32_e32 v84, v44, v120
	;; [unrolled: 1-line block ×3, first 2 shown]
	v_fmac_f32_e32 v109, -0.5, v44
	v_sub_f32_e32 v44, v110, v119
	v_mov_b32_e32 v46, v109
	v_fmac_f32_e32 v46, 0x3f5db3d7, v44
	v_fmac_f32_e32 v109, 0xbf5db3d7, v44
	v_mul_f32_e32 v86, 0xbf5db3d7, v109
	v_mul_f32_e32 v87, 0.5, v46
	v_add_f32_e32 v40, v40, v115
	v_add_f32_e32 v42, v42, v119
	v_fmac_f32_e32 v86, -0.5, v108
	v_fmac_f32_e32 v87, 0x3f5db3d7, v45
	v_add_f32_e32 v48, v40, v42
	v_mul_f32_e32 v85, 0xbf5db3d7, v46
	v_add_f32_e32 v44, v41, v86
	v_add_f32_e32 v51, v80, v87
	v_sub_f32_e32 v46, v40, v42
	v_sub_f32_e32 v42, v41, v86
	;; [unrolled: 1-line block ×3, first 2 shown]
	s_barrier
	buffer_load_dword v80, off, s[24:27], 0 offset:404 ; 4-byte Folded Reload
	s_waitcnt vmcnt(0)
	ds_write2_b64 v80, v[98:99], v[102:103] offset1:10
	ds_write2_b64 v80, v[96:97], v[106:107] offset0:20 offset1:30
	ds_write2_b64 v80, v[100:101], v[104:105] offset0:40 offset1:50
	buffer_load_dword v80, off, s[24:27], 0 offset:400 ; 4-byte Folded Reload
	s_waitcnt vmcnt(0)
	ds_write2_b64 v80, v[92:93], v[94:95] offset1:10
	ds_write2_b64 v80, v[82:83], v[88:89] offset0:20 offset1:30
	ds_write2_b64 v80, v[76:77], v[78:79] offset0:40 offset1:50
	buffer_load_dword v76, off, s[24:27], 0 offset:388 ; 4-byte Folded Reload
	s_waitcnt vmcnt(0)
	ds_write2_b64 v76, v[72:73], v[74:75] offset1:10
	ds_write2_b64 v76, v[68:69], v[70:71] offset0:20 offset1:30
	ds_write2_b64 v76, v[64:65], v[66:67] offset0:40 offset1:50
	buffer_load_dword v64, off, s[24:27], 0 offset:348 ; 4-byte Folded Reload
	s_waitcnt vmcnt(0)
	ds_write2_b64 v64, v[60:61], v[62:63] offset1:10
	ds_write2_b64 v64, v[56:57], v[58:59] offset0:20 offset1:30
	ds_write2_b64 v64, v[52:53], v[54:55] offset0:40 offset1:50
	buffer_load_dword v52, off, s[24:27], 0 offset:300 ; 4-byte Folded Reload
	v_mul_f32_e32 v90, -0.5, v109
	v_fmac_f32_e32 v85, 0.5, v45
	v_fmac_f32_e32 v90, 0x3f5db3d7, v108
	v_add_f32_e32 v50, v43, v85
	v_add_f32_e32 v49, v47, v84
	;; [unrolled: 1-line block ×3, first 2 shown]
	v_sub_f32_e32 v40, v43, v85
	v_sub_f32_e32 v47, v47, v84
	;; [unrolled: 1-line block ×3, first 2 shown]
	s_waitcnt vmcnt(0)
	ds_write2_b64 v52, v[48:49], v[50:51] offset1:10
	ds_write2_b64 v52, v[44:45], v[46:47] offset0:20 offset1:30
	ds_write2_b64 v52, v[40:41], v[42:43] offset0:40 offset1:50
	s_waitcnt lgkmcnt(0)
	s_barrier
	ds_read2_b64 v[48:51], v167 offset1:96
	ds_read2_b64 v[40:43], v155 offset0:128 offset1:224
	ds_read2_b64 v[58:61], v202 offset0:64 offset1:160
	;; [unrolled: 1-line block ×4, first 2 shown]
	ds_read2_b64 v[73:76], v181 offset1:96
	ds_read2_b64 v[77:80], v148 offset0:64 offset1:160
	ds_read2_b64 v[81:84], v203 offset1:96
	ds_read2_b64 v[85:88], v160 offset0:64 offset1:160
	ds_read2_b64 v[44:47], v0 offset0:64 offset1:160
	;; [unrolled: 1-line block ×4, first 2 shown]
	ds_read2_b64 v[97:100], v1 offset1:96
	v_mov_b32_e32 v110, v1
	s_waitcnt lgkmcnt(9)
	v_mul_f32_e32 v1, v191, v64
	ds_read2_b64 v[101:104], v2 offset0:64 offset1:160
	v_mov_b32_e32 v118, v2
	ds_read2_b64 v[105:108], v150 offset0:128 offset1:224
	v_fma_f32 v53, v190, v65, -v1
	buffer_load_dword v1, off, s[24:27], 0 offset:304 ; 4-byte Folded Reload
	buffer_load_dword v2, off, s[24:27], 0 offset:308 ; 4-byte Folded Reload
	v_mul_f32_e32 v52, v5, v43
	v_mul_f32_e32 v5, v5, v42
	v_mov_b32_e32 v113, v0
	v_fmac_f32_e32 v52, v4, v42
	v_fma_f32 v5, v4, v43, -v5
	v_mul_f32_e32 v56, v7, v59
	v_mul_f32_e32 v4, v7, v58
	s_waitcnt lgkmcnt(10)
	v_mul_f32_e32 v0, v193, v66
	v_fmac_f32_e32 v56, v6, v58
	v_fma_f32 v58, v6, v59, -v4
	v_fma_f32 v59, v192, v67, -v0
	v_mov_b32_e32 v109, v3
	s_waitcnt lgkmcnt(7)
	v_mul_f32_e32 v3, v21, v81
	v_fma_f32 v3, v20, v82, -v3
	v_mul_f32_e32 v7, v23, v69
	v_fmac_f32_e32 v7, v22, v68
	v_mul_f32_e32 v4, v35, v61
	v_fmac_f32_e32 v4, v34, v60
	;; [unrolled: 2-line block ×4, first 2 shown]
	s_waitcnt vmcnt(0)
	v_mul_f32_e32 v0, v2, v75
	v_fma_f32 v55, v1, v76, -v0
	v_mul_f32_e32 v0, v33, v77
	v_mul_f32_e32 v54, v2, v76
	v_fma_f32 v2, v32, v78, -v0
	v_mul_f32_e32 v0, v35, v60
	v_fma_f32 v6, v34, v61, -v0
	v_mul_f32_e32 v0, v21, v82
	v_fmac_f32_e32 v0, v20, v81
	v_mul_f32_e32 v20, v23, v68
	v_fma_f32 v20, v22, v69, -v20
	buffer_load_dword v22, off, s[24:27], 0 offset:284 ; 4-byte Folded Reload
	buffer_load_dword v23, off, s[24:27], 0 offset:288 ; 4-byte Folded Reload
	v_fmac_f32_e32 v54, v1, v75
	v_mul_f32_e32 v1, v33, v78
	v_fmac_f32_e32 v1, v32, v77
	buffer_load_dword v32, off, s[24:27], 0 offset:292 ; 4-byte Folded Reload
	buffer_load_dword v33, off, s[24:27], 0 offset:296 ; 4-byte Folded Reload
	s_waitcnt lgkmcnt(4)
	v_mul_f32_e32 v34, v27, v92
	v_fmac_f32_e32 v34, v26, v91
	s_waitcnt lgkmcnt(2)
	v_mul_f32_e32 v35, v37, v100
	v_fmac_f32_e32 v35, v36, v99
	v_add_u32_e32 v76, 0x2400, v167
	s_waitcnt vmcnt(2)
	v_mul_f32_e32 v21, v23, v85
	v_mul_f32_e32 v68, v23, v86
	v_fma_f32 v69, v22, v86, -v21
	v_mul_f32_e32 v21, v13, v80
	v_mul_f32_e32 v13, v13, v79
	v_fmac_f32_e32 v68, v22, v85
	v_fmac_f32_e32 v21, v12, v79
	v_fma_f32 v22, v12, v80, -v13
	v_mul_f32_e32 v13, v15, v90
	v_mul_f32_e32 v12, v15, v89
	v_fmac_f32_e32 v13, v14, v89
	v_fma_f32 v14, v14, v90, -v12
	v_mul_f32_e32 v12, v9, v84
	v_mul_f32_e32 v9, v9, v83
	;; [unrolled: 4-line block ×3, first 2 shown]
	v_fmac_f32_e32 v9, v10, v93
	v_fma_f32 v10, v10, v94, -v11
	s_waitcnt vmcnt(0)
	v_mul_f32_e32 v11, v33, v88
	v_mul_f32_e32 v15, v33, v87
	;; [unrolled: 1-line block ×4, first 2 shown]
	v_fmac_f32_e32 v11, v32, v87
	v_fma_f32 v15, v32, v88, -v15
	v_fmac_f32_e32 v23, v24, v97
	v_fma_f32 v32, v24, v98, -v25
	v_mul_f32_e32 v24, v27, v91
	v_fma_f32 v26, v26, v92, -v24
	s_waitcnt lgkmcnt(1)
	v_mul_f32_e32 v24, v17, v102
	v_mul_f32_e32 v17, v17, v101
	v_fmac_f32_e32 v24, v16, v101
	v_fma_f32 v25, v16, v102, -v17
	v_mul_f32_e32 v27, v19, v96
	v_mul_f32_e32 v16, v19, v95
	v_fmac_f32_e32 v27, v18, v95
	v_fma_f32 v66, v18, v96, -v16
	buffer_load_dword v17, off, s[24:27], 0 offset:312 ; 4-byte Folded Reload
	buffer_load_dword v18, off, s[24:27], 0 offset:316 ; 4-byte Folded Reload
	v_mul_f32_e32 v33, v29, v104
	v_fmac_f32_e32 v33, v28, v103
	s_waitcnt vmcnt(0) lgkmcnt(0)
	v_mul_f32_e32 v70, v18, v106
	v_mul_f32_e32 v16, v18, v105
	v_fmac_f32_e32 v70, v17, v105
	v_fma_f32 v72, v17, v106, -v16
	buffer_load_dword v17, off, s[24:27], 0 offset:392 ; 4-byte Folded Reload
	buffer_load_dword v18, off, s[24:27], 0 offset:396 ; 4-byte Folded Reload
	v_mul_f32_e32 v16, v37, v99
	v_fma_f32 v42, v36, v100, -v16
	v_mul_f32_e32 v37, v39, v63
	v_mul_f32_e32 v16, v39, v62
	v_fmac_f32_e32 v37, v38, v62
	v_fma_f32 v38, v38, v63, -v16
	v_mul_f32_e32 v16, v29, v103
	v_fma_f32 v36, v28, v104, -v16
	v_mul_f32_e32 v16, v31, v73
	v_mul_f32_e32 v39, v31, v74
	v_fma_f32 v67, v30, v74, -v16
	v_add_f32_e32 v28, v58, v59
	v_fmac_f32_e32 v39, v30, v73
	v_fma_f32 v28, -0.5, v28, v49
	v_sub_f32_e32 v29, v56, v57
	v_mov_b32_e32 v30, v28
	v_add_f32_e32 v31, v43, v54
	v_fmac_f32_e32 v30, 0x3f5db3d7, v29
	v_fmac_f32_e32 v28, 0xbf5db3d7, v29
	v_add_f32_e32 v29, v52, v43
	v_fmac_f32_e32 v52, -0.5, v31
	v_sub_f32_e32 v31, v53, v55
	v_sub_f32_e32 v43, v43, v54
	v_add_f32_e32 v29, v29, v54
	s_waitcnt vmcnt(0)
	s_barrier
	v_mul_f32_e32 v71, v18, v108
	v_mul_f32_e32 v16, v18, v107
	v_fmac_f32_e32 v71, v17, v107
	v_fma_f32 v73, v17, v108, -v16
	v_add_f32_e32 v17, v56, v57
	v_fma_f32 v17, -0.5, v17, v48
	v_sub_f32_e32 v18, v58, v59
	v_mov_b32_e32 v19, v17
	v_add_f32_e32 v16, v48, v56
	v_fmac_f32_e32 v19, 0xbf5db3d7, v18
	v_fmac_f32_e32 v17, 0x3f5db3d7, v18
	v_add_f32_e32 v18, v49, v58
	v_mov_b32_e32 v48, v52
	v_add_f32_e32 v49, v53, v55
	v_fmac_f32_e32 v48, 0xbf5db3d7, v31
	v_fmac_f32_e32 v52, 0x3f5db3d7, v31
	v_add_f32_e32 v31, v5, v53
	v_fmac_f32_e32 v5, -0.5, v49
	v_add_f32_e32 v16, v16, v57
	v_mov_b32_e32 v49, v5
	v_fmac_f32_e32 v5, 0xbf5db3d7, v43
	v_add_f32_e32 v56, v16, v29
	v_mul_f32_e32 v53, 0xbf5db3d7, v5
	v_sub_f32_e32 v64, v16, v29
	v_add_f32_e32 v16, v4, v7
	v_add_f32_e32 v18, v18, v59
	;; [unrolled: 1-line block ×3, first 2 shown]
	v_fmac_f32_e32 v53, -0.5, v52
	v_fma_f32 v16, -0.5, v16, v50
	v_fmac_f32_e32 v49, 0x3f5db3d7, v43
	v_add_f32_e32 v54, v17, v53
	v_add_f32_e32 v57, v18, v31
	v_sub_f32_e32 v62, v17, v53
	v_sub_f32_e32 v65, v18, v31
	;; [unrolled: 1-line block ×3, first 2 shown]
	v_mov_b32_e32 v18, v16
	v_mul_f32_e32 v43, 0xbf5db3d7, v49
	v_mul_f32_e32 v5, -0.5, v5
	v_fmac_f32_e32 v18, 0xbf5db3d7, v17
	v_fmac_f32_e32 v16, 0x3f5db3d7, v17
	v_add_f32_e32 v17, v51, v6
	v_add_f32_e32 v6, v6, v20
	v_fmac_f32_e32 v43, 0.5, v48
	v_fmac_f32_e32 v5, 0x3f5db3d7, v52
	v_fmac_f32_e32 v51, -0.5, v6
	v_add_f32_e32 v60, v19, v43
	v_add_f32_e32 v55, v28, v5
	v_sub_f32_e32 v58, v19, v43
	v_sub_f32_e32 v63, v28, v5
	v_add_f32_e32 v5, v50, v4
	v_sub_f32_e32 v4, v4, v7
	v_mov_b32_e32 v19, v51
	v_add_f32_e32 v6, v0, v68
	v_fmac_f32_e32 v19, 0x3f5db3d7, v4
	v_fmac_f32_e32 v51, 0xbf5db3d7, v4
	v_add_f32_e32 v4, v1, v0
	v_fmac_f32_e32 v1, -0.5, v6
	v_add_f32_e32 v5, v5, v7
	v_sub_f32_e32 v6, v3, v69
	v_mov_b32_e32 v7, v1
	v_fmac_f32_e32 v7, 0xbf5db3d7, v6
	v_fmac_f32_e32 v1, 0x3f5db3d7, v6
	v_add_f32_e32 v6, v2, v3
	v_add_f32_e32 v3, v3, v69
	v_fmac_f32_e32 v2, -0.5, v3
	v_sub_f32_e32 v0, v0, v68
	v_mov_b32_e32 v3, v2
	v_mul_f32_e32 v49, 0.5, v49
	v_fmac_f32_e32 v3, 0x3f5db3d7, v0
	v_fmac_f32_e32 v49, 0x3f5db3d7, v48
	v_add_f32_e32 v17, v17, v20
	v_add_f32_e32 v20, v6, v69
	v_mul_f32_e32 v28, 0xbf5db3d7, v3
	v_mul_f32_e32 v3, 0.5, v3
	v_add_f32_e32 v61, v30, v49
	v_sub_f32_e32 v59, v30, v49
	v_fmac_f32_e32 v28, 0.5, v7
	v_add_f32_e32 v49, v17, v20
	v_fmac_f32_e32 v3, 0x3f5db3d7, v7
	v_sub_f32_e32 v7, v17, v20
	v_add_f32_e32 v17, v13, v9
	v_fmac_f32_e32 v2, 0xbf5db3d7, v0
	v_fma_f32 v17, -0.5, v17, v44
	v_add_f32_e32 v52, v18, v28
	v_mul_f32_e32 v29, 0xbf5db3d7, v2
	v_add_f32_e32 v53, v19, v3
	v_mul_f32_e32 v30, -0.5, v2
	v_sub_f32_e32 v2, v18, v28
	v_sub_f32_e32 v3, v19, v3
	;; [unrolled: 1-line block ×3, first 2 shown]
	v_mov_b32_e32 v19, v17
	v_fmac_f32_e32 v19, 0xbf5db3d7, v18
	v_fmac_f32_e32 v17, 0x3f5db3d7, v18
	v_add_f32_e32 v18, v45, v14
	v_add_f32_e32 v4, v4, v68
	v_fmac_f32_e32 v29, -0.5, v1
	v_add_f32_e32 v20, v18, v10
	v_add_f32_e32 v10, v14, v10
	;; [unrolled: 1-line block ×4, first 2 shown]
	v_sub_f32_e32 v6, v5, v4
	v_sub_f32_e32 v4, v16, v29
	v_add_f32_e32 v16, v44, v13
	v_fma_f32 v28, -0.5, v10, v45
	v_add_f32_e32 v16, v16, v9
	v_sub_f32_e32 v9, v13, v9
	v_mov_b32_e32 v29, v28
	v_fmac_f32_e32 v29, 0x3f5db3d7, v9
	v_fmac_f32_e32 v28, 0xbf5db3d7, v9
	v_add_f32_e32 v9, v21, v12
	v_add_f32_e32 v14, v9, v11
	;; [unrolled: 1-line block ×3, first 2 shown]
	v_fmac_f32_e32 v21, -0.5, v9
	v_sub_f32_e32 v9, v8, v15
	v_mov_b32_e32 v13, v21
	v_fmac_f32_e32 v13, 0xbf5db3d7, v9
	v_fmac_f32_e32 v21, 0x3f5db3d7, v9
	v_add_f32_e32 v9, v22, v8
	v_add_f32_e32 v8, v8, v15
	v_fmac_f32_e32 v22, -0.5, v8
	v_sub_f32_e32 v8, v12, v11
	v_mov_b32_e32 v11, v22
	v_fmac_f32_e32 v30, 0x3f5db3d7, v1
	v_fmac_f32_e32 v11, 0x3f5db3d7, v8
	v_add_f32_e32 v1, v51, v30
	v_sub_f32_e32 v5, v51, v30
	v_add_f32_e32 v30, v9, v15
	v_fmac_f32_e32 v22, 0xbf5db3d7, v8
	v_mul_f32_e32 v15, 0xbf5db3d7, v11
	v_fmac_f32_e32 v15, 0.5, v13
	v_mul_f32_e32 v31, 0xbf5db3d7, v22
	v_mul_f32_e32 v22, -0.5, v22
	v_add_f32_e32 v8, v16, v14
	v_add_f32_e32 v12, v19, v15
	v_fmac_f32_e32 v31, -0.5, v21
	v_add_f32_e32 v9, v20, v30
	v_mul_f32_e32 v43, 0.5, v11
	v_fmac_f32_e32 v22, 0x3f5db3d7, v21
	v_sub_f32_e32 v18, v16, v14
	v_sub_f32_e32 v14, v19, v15
	v_sub_f32_e32 v19, v20, v30
	v_add_f32_e32 v20, v46, v34
	v_add_f32_e32 v10, v17, v31
	v_fmac_f32_e32 v43, 0x3f5db3d7, v13
	v_add_f32_e32 v11, v28, v22
	v_sub_f32_e32 v16, v17, v31
	v_sub_f32_e32 v17, v28, v22
	v_add_f32_e32 v28, v20, v27
	v_add_f32_e32 v20, v34, v27
	;; [unrolled: 1-line block ×3, first 2 shown]
	v_sub_f32_e32 v15, v29, v43
	v_fma_f32 v29, -0.5, v20, v46
	v_sub_f32_e32 v20, v26, v66
	v_mov_b32_e32 v31, v29
	v_fmac_f32_e32 v31, 0xbf5db3d7, v20
	v_fmac_f32_e32 v29, 0x3f5db3d7, v20
	v_add_f32_e32 v20, v47, v26
	v_add_f32_e32 v43, v20, v66
	v_add_f32_e32 v20, v26, v66
	v_fmac_f32_e32 v47, -0.5, v20
	v_sub_f32_e32 v20, v34, v27
	v_mov_b32_e32 v27, v47
	v_fmac_f32_e32 v27, 0x3f5db3d7, v20
	v_fmac_f32_e32 v47, 0xbf5db3d7, v20
	v_add_f32_e32 v20, v23, v24
	v_add_f32_e32 v26, v20, v70
	v_add_f32_e32 v20, v24, v70
	v_fmac_f32_e32 v23, -0.5, v20
	;; [unrolled: 8-line block ×3, first 2 shown]
	v_sub_f32_e32 v20, v24, v70
	v_mov_b32_e32 v25, v32
	v_fmac_f32_e32 v32, 0xbf5db3d7, v20
	v_fmac_f32_e32 v25, 0x3f5db3d7, v20
	v_mul_f32_e32 v45, 0xbf5db3d7, v32
	v_mul_f32_e32 v32, -0.5, v32
	v_mul_f32_e32 v44, 0xbf5db3d7, v25
	v_fmac_f32_e32 v45, -0.5, v23
	v_mul_f32_e32 v46, 0.5, v25
	v_fmac_f32_e32 v32, 0x3f5db3d7, v23
	v_add_f32_e32 v20, v28, v26
	v_fmac_f32_e32 v44, 0.5, v30
	v_add_f32_e32 v22, v29, v45
	v_fmac_f32_e32 v46, 0x3f5db3d7, v30
	v_add_f32_e32 v23, v47, v32
	v_sub_f32_e32 v30, v28, v26
	v_sub_f32_e32 v28, v29, v45
	;; [unrolled: 1-line block ×3, first 2 shown]
	v_add_f32_e32 v32, v40, v37
	v_add_f32_e32 v24, v31, v44
	;; [unrolled: 1-line block ×3, first 2 shown]
	v_sub_f32_e32 v26, v31, v44
	v_sub_f32_e32 v31, v43, v34
	v_add_f32_e32 v43, v32, v39
	v_add_f32_e32 v32, v37, v39
	v_fma_f32 v40, -0.5, v32, v40
	v_sub_f32_e32 v32, v38, v67
	v_mov_b32_e32 v44, v40
	v_fmac_f32_e32 v44, 0xbf5db3d7, v32
	v_fmac_f32_e32 v40, 0x3f5db3d7, v32
	v_add_f32_e32 v32, v41, v38
	v_add_f32_e32 v45, v32, v67
	;; [unrolled: 1-line block ×3, first 2 shown]
	v_fmac_f32_e32 v41, -0.5, v32
	v_sub_f32_e32 v32, v37, v39
	v_mov_b32_e32 v39, v41
	v_fmac_f32_e32 v39, 0x3f5db3d7, v32
	v_fmac_f32_e32 v41, 0xbf5db3d7, v32
	v_add_f32_e32 v32, v35, v33
	v_add_f32_e32 v38, v32, v71
	v_add_f32_e32 v32, v33, v71
	v_fmac_f32_e32 v35, -0.5, v32
	v_sub_f32_e32 v32, v36, v73
	v_mov_b32_e32 v37, v35
	v_fmac_f32_e32 v37, 0xbf5db3d7, v32
	v_fmac_f32_e32 v35, 0x3f5db3d7, v32
	v_add_f32_e32 v32, v42, v36
	v_add_f32_e32 v25, v27, v46
	v_sub_f32_e32 v27, v27, v46
	v_add_f32_e32 v46, v32, v73
	v_add_f32_e32 v32, v36, v73
	v_fmac_f32_e32 v42, -0.5, v32
	v_sub_f32_e32 v32, v33, v71
	v_mov_b32_e32 v47, v42
	v_fmac_f32_e32 v47, 0x3f5db3d7, v32
	v_mul_f32_e32 v50, 0xbf5db3d7, v47
	v_fmac_f32_e32 v42, 0xbf5db3d7, v32
	v_fmac_f32_e32 v50, 0.5, v37
	v_add_f32_e32 v32, v43, v38
	v_add_f32_e32 v36, v44, v50
	v_mul_f32_e32 v51, 0xbf5db3d7, v42
	v_mul_f32_e32 v66, -0.5, v42
	v_sub_f32_e32 v42, v43, v38
	v_sub_f32_e32 v38, v44, v50
	buffer_load_dword v44, off, s[24:27], 0 offset:352 ; 4-byte Folded Reload
	s_waitcnt vmcnt(0)
	ds_write2_b64 v44, v[56:57], v[60:61] offset1:60
	ds_write2_b64 v44, v[54:55], v[64:65] offset0:120 offset1:180
	buffer_load_dword v44, off, s[24:27], 0 offset:320 ; 4-byte Folded Reload
	v_mul_f32_e32 v47, 0.5, v47
	v_fmac_f32_e32 v47, 0x3f5db3d7, v37
	v_fmac_f32_e32 v51, -0.5, v35
	v_add_f32_e32 v33, v45, v46
	v_add_f32_e32 v37, v39, v47
	v_fmac_f32_e32 v66, 0x3f5db3d7, v35
	v_add_f32_e32 v34, v40, v51
	v_add_f32_e32 v35, v41, v66
	v_sub_f32_e32 v43, v45, v46
	v_sub_f32_e32 v40, v40, v51
	;; [unrolled: 1-line block ×4, first 2 shown]
	s_waitcnt vmcnt(0)
	ds_write2_b64 v44, v[58:59], v[62:63] offset0:112 offset1:172
	buffer_load_dword v44, off, s[24:27], 0 offset:280 ; 4-byte Folded Reload
	s_waitcnt vmcnt(0)
	ds_write2_b64 v44, v[48:49], v[52:53] offset1:60
	ds_write2_b64 v44, v[0:1], v[6:7] offset0:120 offset1:180
	buffer_load_dword v0, off, s[24:27], 0 offset:276 ; 4-byte Folded Reload
	s_waitcnt vmcnt(0)
	ds_write2_b64 v0, v[2:3], v[4:5] offset0:112 offset1:172
	buffer_load_dword v0, off, s[24:27], 0 offset:336 ; 4-byte Folded Reload
	s_waitcnt vmcnt(0)
	ds_write2_b64 v0, v[8:9], v[12:13] offset1:60
	ds_write2_b64 v0, v[10:11], v[18:19] offset0:120 offset1:180
	buffer_load_dword v0, off, s[24:27], 0 offset:324 ; 4-byte Folded Reload
	;; [unrolled: 7-line block ×4, first 2 shown]
	s_waitcnt vmcnt(0)
	ds_write2_b64 v0, v[38:39], v[40:41] offset0:112 offset1:172
	s_waitcnt lgkmcnt(0)
	s_barrier
	ds_read2_b64 v[0:3], v167 offset1:96
	ds_read2_b64 v[4:7], v156 offset0:64 offset1:160
	ds_read2_b64 v[8:11], v203 offset1:96
	ds_read2_b64 v[12:15], v113 offset0:64 offset1:160
	ds_read2_b64 v[16:19], v118 offset0:64 offset1:160
	;; [unrolled: 1-line block ×6, first 2 shown]
	ds_read2_b64 v[36:39], v110 offset1:96
	ds_read2_b64 v[40:43], v181 offset1:96
	ds_read2_b64 v[44:47], v202 offset0:64 offset1:160
	ds_read2_b64 v[48:51], v160 offset0:64 offset1:160
	;; [unrolled: 1-line block ×4, first 2 shown]
	buffer_load_dword v61, off, s[24:27], 0 offset:364 ; 4-byte Folded Reload
	buffer_load_dword v62, off, s[24:27], 0 offset:368 ; 4-byte Folded Reload
	s_waitcnt lgkmcnt(4)
	v_mul_f32_e32 v69, v251, v41
	v_mul_f32_e32 v70, v253, v43
	s_waitcnt lgkmcnt(2)
	v_mul_f32_e32 v71, v255, v49
	v_mul_f32_e32 v72, v243, v51
	;; [unrolled: 3-line block ×3, first 2 shown]
	v_fmac_f32_e32 v69, v250, v40
	v_fmac_f32_e32 v70, v252, v42
	;; [unrolled: 1-line block ×6, first 2 shown]
	s_waitcnt vmcnt(0)
	v_mul_f32_e32 v60, v62, v7
	v_fmac_f32_e32 v60, v61, v6
	v_mul_f32_e32 v6, v62, v6
	buffer_load_dword v62, off, s[24:27], 0 offset:356 ; 4-byte Folded Reload
	buffer_load_dword v63, off, s[24:27], 0 offset:360 ; 4-byte Folded Reload
	v_fma_f32 v7, v61, v7, -v6
	v_sub_f32_e32 v7, v1, v7
	v_fma_f32 v1, v1, 2.0, -v7
	s_waitcnt vmcnt(0)
	v_mul_f32_e32 v61, v63, v9
	v_mul_f32_e32 v6, v63, v8
	buffer_load_dword v63, off, s[24:27], 0 offset:372 ; 4-byte Folded Reload
	buffer_load_dword v64, off, s[24:27], 0 offset:376 ; 4-byte Folded Reload
	v_fmac_f32_e32 v61, v62, v8
	v_fma_f32 v9, v62, v9, -v6
	v_sub_f32_e32 v8, v2, v61
	v_sub_f32_e32 v9, v3, v9
	v_fma_f32 v2, v2, 2.0, -v8
	v_fma_f32 v3, v3, 2.0, -v9
	s_waitcnt vmcnt(0)
	v_mul_f32_e32 v62, v64, v11
	v_mul_f32_e32 v6, v64, v10
	buffer_load_dword v64, off, s[24:27], 0 offset:380 ; 4-byte Folded Reload
	buffer_load_dword v65, off, s[24:27], 0 offset:384 ; 4-byte Folded Reload
	v_fmac_f32_e32 v62, v63, v10
	v_fma_f32 v11, v63, v11, -v6
	v_sub_f32_e32 v10, v12, v62
	v_sub_f32_e32 v11, v13, v11
	v_fma_f32 v12, v12, 2.0, -v10
	;; [unrolled: 11-line block ×4, first 2 shown]
	v_fma_f32 v21, v21, 2.0, -v19
	s_waitcnt vmcnt(0)
	v_mul_f32_e32 v65, v67, v25
	v_mul_f32_e32 v6, v67, v24
	buffer_load_dword v67, off, s[24:27], 0 offset:500 ; 4-byte Folded Reload
	buffer_load_dword v68, off, s[24:27], 0 offset:504 ; 4-byte Folded Reload
	v_fma_f32 v25, v66, v25, -v6
	v_fmac_f32_e32 v65, v66, v24
	s_waitcnt vmcnt(0)
	s_barrier
	v_sub_f32_e32 v24, v22, v65
	v_sub_f32_e32 v25, v23, v25
	v_fma_f32 v22, v22, 2.0, -v24
	v_fma_f32 v23, v23, 2.0, -v25
	v_mul_f32_e32 v6, v68, v26
	v_mul_f32_e32 v66, v68, v27
	v_fma_f32 v27, v67, v27, -v6
	v_mul_f32_e32 v6, v247, v32
	v_fmac_f32_e32 v66, v67, v26
	v_mul_f32_e32 v67, v247, v33
	v_fma_f32 v33, v246, v33, -v6
	v_mul_f32_e32 v6, v249, v34
	v_mul_f32_e32 v68, v249, v35
	v_fma_f32 v35, v248, v35, -v6
	v_mul_f32_e32 v6, v251, v40
	v_fma_f32 v41, v250, v41, -v6
	v_mul_f32_e32 v6, v253, v42
	v_fma_f32 v43, v252, v43, -v6
	v_mul_f32_e32 v6, v255, v48
	v_fma_f32 v49, v254, v49, -v6
	v_mul_f32_e32 v6, v243, v50
	v_fma_f32 v51, v242, v51, -v6
	v_mul_f32_e32 v6, v241, v56
	v_fma_f32 v57, v240, v57, -v6
	v_mul_f32_e32 v6, v239, v58
	v_fma_f32 v59, v238, v59, -v6
	v_sub_f32_e32 v6, v0, v60
	v_fma_f32 v0, v0, 2.0, -v6
	ds_write_b64 v167, v[6:7] offset:2880
	ds_write2_b64 v167, v[0:1], v[2:3] offset1:96
	ds_write_b64 v167, v[12:13] offset:1536
	v_add_u32_e32 v0, 0xc00, v167
	ds_write2_b64 v0, v[8:9], v[10:11] offset0:72 offset1:168
	buffer_load_dword v0, off, s[24:27], 0 offset:408 ; 4-byte Folded Reload
	v_sub_f32_e32 v26, v28, v66
	v_sub_f32_e32 v27, v29, v27
	s_waitcnt vmcnt(0)
	ds_write_b64 v0, v[14:15]
	ds_write_b64 v0, v[16:17] offset:2880
	v_add_u32_e32 v0, 0x1400, v167
	v_fma_f32 v28, v28, 2.0, -v26
	v_fma_f32 v29, v29, 2.0, -v27
	ds_write2_b64 v0, v[20:21], v[22:23] offset0:104 offset1:200
	ds_write2_b64 v202, v[28:29], v[18:19] offset0:40 offset1:208
	buffer_load_dword v0, off, s[24:27], 0 offset:424 ; 4-byte Folded Reload
	v_fmac_f32_e32 v67, v246, v32
	v_sub_f32_e32 v32, v30, v67
	v_sub_f32_e32 v33, v31, v33
	v_fma_f32 v30, v30, 2.0, -v32
	v_fma_f32 v31, v31, 2.0, -v33
	ds_write2_b64 v76, v[24:25], v[26:27] offset0:48 offset1:144
	s_waitcnt vmcnt(0)
	ds_write_b64 v0, v[30:31]
	ds_write_b64 v0, v[32:33] offset:2880
	buffer_load_dword v0, off, s[24:27], 0 offset:412 ; 4-byte Folded Reload
	v_fmac_f32_e32 v68, v248, v34
	v_sub_f32_e32 v34, v36, v68
	v_sub_f32_e32 v35, v37, v35
	v_fma_f32 v36, v36, 2.0, -v34
	v_fma_f32 v37, v37, 2.0, -v35
	s_waitcnt vmcnt(0)
	ds_write_b64 v0, v[36:37] offset:11520
	ds_write_b64 v0, v[34:35] offset:14400
	buffer_load_dword v0, off, s[24:27], 0 offset:416 ; 4-byte Folded Reload
	v_sub_f32_e32 v40, v38, v69
	v_sub_f32_e32 v41, v39, v41
	v_fma_f32 v38, v38, 2.0, -v40
	v_fma_f32 v39, v39, 2.0, -v41
	s_waitcnt vmcnt(0)
	ds_write_b64 v0, v[38:39] offset:11520
	ds_write_b64 v0, v[40:41] offset:14400
	buffer_load_dword v0, off, s[24:27], 0 offset:420 ; 4-byte Folded Reload
	;; [unrolled: 8-line block ×3, first 2 shown]
	v_sub_f32_e32 v48, v46, v71
	v_sub_f32_e32 v49, v47, v49
	v_fma_f32 v46, v46, 2.0, -v48
	v_fma_f32 v47, v47, 2.0, -v49
	s_waitcnt vmcnt(0)
	ds_write_b64 v0, v[46:47]
	ds_write_b64 v0, v[48:49] offset:2880
	buffer_load_dword v0, off, s[24:27], 0 offset:428 ; 4-byte Folded Reload
	v_sub_f32_e32 v50, v52, v72
	v_sub_f32_e32 v51, v53, v51
	v_fma_f32 v52, v52, 2.0, -v50
	v_fma_f32 v53, v53, 2.0, -v51
	s_waitcnt vmcnt(0)
	ds_write_b64 v0, v[52:53] offset:17280
	ds_write_b64 v0, v[50:51] offset:20160
	buffer_load_dword v0, off, s[24:27], 0 offset:432 ; 4-byte Folded Reload
	v_sub_f32_e32 v56, v54, v73
	v_sub_f32_e32 v57, v55, v57
	v_fma_f32 v54, v54, 2.0, -v56
	v_fma_f32 v55, v55, 2.0, -v57
	s_waitcnt vmcnt(0)
	ds_write_b64 v0, v[54:55] offset:17280
	;; [unrolled: 8-line block ×3, first 2 shown]
	ds_write_b64 v0, v[58:59] offset:20160
	s_waitcnt lgkmcnt(0)
	s_barrier
	ds_read2_b64 v[0:3], v167 offset1:96
	ds_read2_b64 v[4:7], v156 offset0:64 offset1:160
	ds_read2_b64 v[8:11], v203 offset1:96
	ds_read2_b64 v[12:15], v113 offset0:64 offset1:160
	ds_read2_b64 v[16:19], v118 offset0:64 offset1:160
	;; [unrolled: 1-line block ×6, first 2 shown]
	ds_read2_b64 v[36:39], v110 offset1:96
	ds_read2_b64 v[40:43], v181 offset1:96
	ds_read2_b64 v[44:47], v202 offset0:64 offset1:160
	ds_read2_b64 v[48:51], v160 offset0:64 offset1:160
	;; [unrolled: 1-line block ×4, first 2 shown]
	s_waitcnt lgkmcnt(13)
	v_mul_f32_e32 v60, v237, v7
	v_fmac_f32_e32 v60, v236, v6
	v_mul_f32_e32 v6, v237, v6
	v_fma_f32 v7, v236, v7, -v6
	s_waitcnt lgkmcnt(12)
	v_mul_f32_e32 v6, v235, v8
	v_mul_f32_e32 v61, v235, v9
	v_fma_f32 v9, v234, v9, -v6
	v_mul_f32_e32 v6, v233, v10
	v_mul_f32_e32 v62, v233, v11
	v_fma_f32 v11, v232, v11, -v6
	s_waitcnt lgkmcnt(10)
	v_mul_f32_e32 v6, v245, v16
	v_mul_f32_e32 v63, v245, v17
	v_fma_f32 v17, v244, v17, -v6
	v_mul_f32_e32 v6, v229, v18
	;; [unrolled: 7-line block ×6, first 2 shown]
	v_mul_f32_e32 v72, v213, v51
	v_fma_f32 v51, v212, v51, -v6
	s_waitcnt lgkmcnt(0)
	v_mul_f32_e32 v6, v211, v56
	v_fmac_f32_e32 v61, v234, v8
	v_fmac_f32_e32 v62, v232, v10
	;; [unrolled: 1-line block ×6, first 2 shown]
	v_mul_f32_e32 v73, v211, v57
	v_fma_f32 v57, v210, v57, -v6
	v_mul_f32_e32 v6, v209, v58
	v_mul_f32_e32 v74, v209, v59
	v_fma_f32 v59, v208, v59, -v6
	v_sub_f32_e32 v6, v0, v60
	v_sub_f32_e32 v7, v1, v7
	;; [unrolled: 1-line block ×14, first 2 shown]
	v_fma_f32 v0, v0, 2.0, -v6
	v_fma_f32 v1, v1, 2.0, -v7
	;; [unrolled: 1-line block ×14, first 2 shown]
	s_barrier
	ds_write_b64 v167, v[6:7] offset:5760
	ds_write2_b64 v167, v[0:1], v[2:3] offset1:96
	ds_write2_b64 v110, v[8:9], v[10:11] offset0:48 offset1:144
	ds_write2_b64 v113, v[12:13], v[14:15] offset0:64 offset1:160
	;; [unrolled: 1-line block ×4, first 2 shown]
	ds_write_b64 v167, v[28:29] offset:4608
	ds_write2_b64 v76, v[24:25], v[26:27] offset0:48 offset1:144
	buffer_load_dword v0, off, s[24:27], 0 offset:444 ; 4-byte Folded Reload
	v_fmac_f32_e32 v67, v222, v32
	v_fmac_f32_e32 v68, v220, v34
	;; [unrolled: 1-line block ×8, first 2 shown]
	v_sub_f32_e32 v32, v30, v67
	v_sub_f32_e32 v33, v31, v33
	v_fma_f32 v30, v30, 2.0, -v32
	v_fma_f32 v31, v31, 2.0, -v33
	v_sub_f32_e32 v34, v36, v68
	v_sub_f32_e32 v35, v37, v35
	;; [unrolled: 1-line block ×14, first 2 shown]
	v_fma_f32 v36, v36, 2.0, -v34
	v_fma_f32 v37, v37, 2.0, -v35
	;; [unrolled: 1-line block ×14, first 2 shown]
	s_waitcnt vmcnt(0)
	ds_write_b64 v0, v[30:31]
	ds_write_b64 v0, v[32:33] offset:5760
	v_add_u32_e32 v0, 0x2c00, v167
	ds_write2_b64 v0, v[36:37], v[38:39] offset0:80 offset1:176
	ds_write2_b64 v181, v[40:41], v[42:43] offset1:96
	ds_write2_b64 v203, v[44:45], v[46:47] offset0:144 offset1:240
	ds_write2_b64 v160, v[48:49], v[50:51] offset0:64 offset1:160
	;; [unrolled: 1-line block ×5, first 2 shown]
	s_waitcnt lgkmcnt(0)
	s_barrier
	ds_read2_b64 v[0:3], v167 offset1:96
	ds_read2_b64 v[4:7], v156 offset0:64 offset1:160
	ds_read2_b64 v[8:11], v203 offset1:96
	ds_read2_b64 v[12:15], v113 offset0:64 offset1:160
	ds_read2_b64 v[16:19], v118 offset0:64 offset1:160
	;; [unrolled: 1-line block ×6, first 2 shown]
	ds_read2_b64 v[36:39], v110 offset1:96
	ds_read2_b64 v[40:43], v181 offset1:96
	ds_read2_b64 v[44:47], v202 offset0:64 offset1:160
	ds_read2_b64 v[48:51], v160 offset0:64 offset1:160
	;; [unrolled: 1-line block ×4, first 2 shown]
	s_waitcnt lgkmcnt(13)
	v_mul_f32_e32 v60, v199, v7
	v_fmac_f32_e32 v60, v198, v6
	v_mul_f32_e32 v6, v199, v6
	v_fma_f32 v7, v198, v7, -v6
	s_waitcnt lgkmcnt(12)
	v_mul_f32_e32 v6, v197, v8
	v_mul_f32_e32 v61, v197, v9
	v_fma_f32 v9, v196, v9, -v6
	v_mul_f32_e32 v6, v189, v10
	v_mul_f32_e32 v62, v189, v11
	v_fma_f32 v11, v188, v11, -v6
	s_waitcnt lgkmcnt(10)
	v_mul_f32_e32 v6, v187, v16
	v_mul_f32_e32 v63, v187, v17
	v_fma_f32 v17, v186, v17, -v6
	v_mul_f32_e32 v6, v185, v18
	;; [unrolled: 7-line block ×6, first 2 shown]
	v_mul_f32_e32 v72, v166, v51
	v_fma_f32 v51, v165, v51, -v6
	s_waitcnt lgkmcnt(0)
	v_mul_f32_e32 v6, v164, v56
	v_fmac_f32_e32 v61, v196, v8
	v_fmac_f32_e32 v62, v188, v10
	v_mul_f32_e32 v73, v164, v57
	v_fma_f32 v57, v163, v57, -v6
	v_mul_f32_e32 v74, v162, v59
	v_mul_f32_e32 v6, v162, v58
	v_fmac_f32_e32 v63, v186, v16
	v_fmac_f32_e32 v64, v184, v18
	;; [unrolled: 1-line block ×12, first 2 shown]
	v_fma_f32 v59, v161, v59, -v6
	v_sub_f32_e32 v7, v1, v7
	v_sub_f32_e32 v8, v2, v61
	;; [unrolled: 1-line block ×5, first 2 shown]
	v_fma_f32 v1, v1, 2.0, -v7
	v_sub_f32_e32 v9, v3, v9
	v_fma_f32 v2, v2, 2.0, -v8
	v_fma_f32 v12, v12, 2.0, -v10
	;; [unrolled: 1-line block ×3, first 2 shown]
	v_sub_f32_e32 v16, v14, v63
	v_sub_f32_e32 v17, v15, v17
	;; [unrolled: 1-line block ×24, first 2 shown]
	v_fma_f32 v0, v0, 2.0, -v6
	v_fma_f32 v3, v3, 2.0, -v9
	;; [unrolled: 1-line block ×26, first 2 shown]
	ds_write_b64 v167, v[6:7] offset:11520
	ds_write2_b64 v167, v[0:1], v[2:3] offset1:96
	ds_write2_b64 v203, v[8:9], v[10:11] offset1:96
	ds_write2_b64 v113, v[12:13], v[14:15] offset0:64 offset1:160
	ds_write2_b64 v118, v[16:17], v[18:19] offset0:64 offset1:160
	ds_write2_b64 v155, v[20:21], v[22:23] offset0:128 offset1:224
	ds_write2_b64 v153, v[24:25], v[26:27] offset0:128 offset1:224
	ds_write2_b64 v148, v[28:29], v[30:31] offset0:64 offset1:160
	ds_write2_b64 v152, v[32:33], v[34:35] offset0:64 offset1:160
	ds_write2_b64 v110, v[36:37], v[38:39] offset1:96
	ds_write2_b64 v181, v[40:41], v[42:43] offset1:96
	ds_write2_b64 v202, v[44:45], v[46:47] offset0:64 offset1:160
	ds_write2_b64 v160, v[48:49], v[50:51] offset0:64 offset1:160
	;; [unrolled: 1-line block ×3, first 2 shown]
	ds_write_b64 v167, v[4:5] offset:10752
	ds_write2_b64 v150, v[56:57], v[58:59] offset0:128 offset1:224
	s_waitcnt lgkmcnt(0)
	s_barrier
	ds_read2_b64 v[10:13], v167 offset1:96
	buffer_load_dword v1, off, s[24:27], 0 offset:256 ; 4-byte Folded Reload
	buffer_load_dword v2, off, s[24:27], 0 offset:260 ; 4-byte Folded Reload
	s_waitcnt vmcnt(0) lgkmcnt(0)
	v_mul_f32_e32 v0, v2, v11
	v_fmac_f32_e32 v0, v1, v10
	v_mov_b32_e32 v3, v2
	v_mov_b32_e32 v2, v1
	v_cvt_f64_f32_e32 v[0:1], v0
	v_mul_f64 v[0:1], v[0:1], s[2:3]
	v_cvt_f32_f64_e32 v0, v[0:1]
	v_mul_f32_e32 v1, v3, v10
	v_fma_f32 v1, v2, v11, -v1
	v_cvt_f64_f32_e32 v[1:2], v1
	v_mul_f64 v[1:2], v[1:2], s[2:3]
	v_cvt_f32_f64_e32 v1, v[1:2]
	v_mad_u64_u32 v[2:3], s[4:5], s0, v180, 0
	v_mad_u64_u32 v[3:4], s[4:5], s1, v180, v[3:4]
	buffer_load_dword v4, off, s[24:27], 0 offset:200 ; 4-byte Folded Reload
	buffer_load_dword v5, off, s[24:27], 0 offset:204 ; 4-byte Folded Reload
	s_mul_i32 s4, s1, 0x900
	v_lshlrev_b64 v[2:3], 3, v[2:3]
	s_mul_hi_u32 s5, s0, 0x900
	s_add_i32 s4, s5, s4
	s_mul_i32 s5, s0, 0x900
	s_waitcnt vmcnt(0)
	v_lshlrev_b64 v[4:5], 3, v[4:5]
	v_add_co_u32_e32 v30, vcc, s12, v4
	v_mov_b32_e32 v4, s13
	v_addc_co_u32_e32 v31, vcc, v4, v5, vcc
	v_add_co_u32_e32 v4, vcc, v30, v2
	v_addc_co_u32_e32 v5, vcc, v31, v3, vcc
	global_store_dwordx2 v[4:5], v[0:1], off
	ds_read2_b64 v[0:3], v113 offset0:64 offset1:160
	buffer_load_dword v7, off, s[24:27], 0 offset:240 ; 4-byte Folded Reload
	buffer_load_dword v8, off, s[24:27], 0 offset:244 ; 4-byte Folded Reload
	ds_read2_b64 v[14:17], v148 offset0:64 offset1:160
	s_waitcnt vmcnt(0) lgkmcnt(1)
	v_mul_f32_e32 v6, v8, v3
	v_mov_b32_e32 v9, v8
	v_fmac_f32_e32 v6, v7, v2
	v_mov_b32_e32 v8, v7
	v_mul_f32_e32 v2, v9, v2
	v_fma_f32 v2, v8, v3, -v2
	v_cvt_f64_f32_e32 v[6:7], v6
	v_cvt_f64_f32_e32 v[2:3], v2
	v_mul_f64 v[6:7], v[6:7], s[2:3]
	v_mul_f64 v[2:3], v[2:3], s[2:3]
	v_cvt_f32_f64_e32 v6, v[6:7]
	v_cvt_f32_f64_e32 v7, v[2:3]
	v_add_co_u32_e32 v2, vcc, s5, v4
	v_mov_b32_e32 v3, s4
	v_addc_co_u32_e32 v3, vcc, v5, v3, vcc
	global_store_dwordx2 v[2:3], v[6:7], off
	buffer_load_dword v5, off, s[24:27], 0 offset:232 ; 4-byte Folded Reload
	s_nop 0
	buffer_load_dword v6, off, s[24:27], 0 offset:236 ; 4-byte Folded Reload
	s_waitcnt vmcnt(0) lgkmcnt(0)
	v_mul_f32_e32 v4, v6, v15
	v_fmac_f32_e32 v4, v5, v14
	v_mov_b32_e32 v7, v6
	v_mov_b32_e32 v6, v5
	v_cvt_f64_f32_e32 v[4:5], v4
	v_mul_f64 v[4:5], v[4:5], s[2:3]
	v_cvt_f32_f64_e32 v4, v[4:5]
	v_mul_f32_e32 v5, v7, v14
	v_fma_f32 v5, v6, v15, -v5
	v_cvt_f64_f32_e32 v[5:6], v5
	v_mul_f64 v[5:6], v[5:6], s[2:3]
	v_cvt_f32_f64_e32 v5, v[5:6]
	v_add_co_u32_e32 v6, vcc, s5, v2
	v_mov_b32_e32 v2, s4
	v_addc_co_u32_e32 v7, vcc, v3, v2, vcc
	global_store_dwordx2 v[6:7], v[4:5], off
	ds_read2_b64 v[2:5], v110 offset1:96
	buffer_load_dword v9, off, s[24:27], 0 offset:216 ; 4-byte Folded Reload
	buffer_load_dword v10, off, s[24:27], 0 offset:220 ; 4-byte Folded Reload
	ds_read2_b64 v[18:21], v109 offset0:128 offset1:224
	s_waitcnt vmcnt(0) lgkmcnt(1)
	v_mul_f32_e32 v8, v10, v5
	v_mov_b32_e32 v11, v10
	v_fmac_f32_e32 v8, v9, v4
	v_mov_b32_e32 v10, v9
	v_mul_f32_e32 v4, v11, v4
	v_fma_f32 v4, v10, v5, -v4
	v_cvt_f64_f32_e32 v[8:9], v8
	v_cvt_f64_f32_e32 v[4:5], v4
	v_add_co_u32_e32 v10, vcc, s5, v6
	v_mul_f64 v[8:9], v[8:9], s[2:3]
	v_mul_f64 v[4:5], v[4:5], s[2:3]
	v_cvt_f32_f64_e32 v8, v[8:9]
	v_cvt_f32_f64_e32 v9, v[4:5]
	v_mov_b32_e32 v4, s4
	v_addc_co_u32_e32 v11, vcc, v7, v4, vcc
	global_store_dwordx2 v[10:11], v[8:9], off
	buffer_load_dword v5, off, s[24:27], 0 offset:224 ; 4-byte Folded Reload
	buffer_load_dword v6, off, s[24:27], 0 offset:228 ; 4-byte Folded Reload
	s_waitcnt vmcnt(0) lgkmcnt(0)
	v_mul_f32_e32 v4, v6, v19
	buffer_load_dword v8, off, s[24:27], 0 offset:272 ; 4-byte Folded Reload
	v_fmac_f32_e32 v4, v5, v18
	v_mov_b32_e32 v7, v6
	v_mov_b32_e32 v6, v5
	v_cvt_f64_f32_e32 v[4:5], v4
	v_mul_f64 v[4:5], v[4:5], s[2:3]
	v_cvt_f32_f64_e32 v4, v[4:5]
	v_mul_f32_e32 v5, v7, v18
	v_fma_f32 v5, v6, v19, -v5
	v_cvt_f64_f32_e32 v[5:6], v5
	v_mul_f64 v[5:6], v[5:6], s[2:3]
	v_cvt_f32_f64_e32 v5, v[5:6]
	s_waitcnt vmcnt(0)
	v_mad_u64_u32 v[6:7], s[6:7], s0, v8, 0
	v_mad_u64_u32 v[7:8], s[6:7], s1, v8, v[7:8]
	s_mul_i32 s6, s1, 0x1200
	s_mul_hi_u32 s7, s0, 0x1200
	v_lshlrev_b64 v[6:7], 3, v[6:7]
	s_add_i32 s6, s7, s6
	v_add_co_u32_e32 v6, vcc, v30, v6
	v_addc_co_u32_e32 v7, vcc, v31, v7, vcc
	global_store_dwordx2 v[6:7], v[4:5], off
	ds_read2_b64 v[4:7], v156 offset0:64 offset1:160
	buffer_load_dword v14, off, s[24:27], 0 offset:208 ; 4-byte Folded Reload
	buffer_load_dword v15, off, s[24:27], 0 offset:212 ; 4-byte Folded Reload
	s_mul_i32 s7, s0, 0x1200
	ds_read2_b64 v[22:25], v118 offset0:64 offset1:160
	s_waitcnt vmcnt(0) lgkmcnt(1)
	v_mul_f32_e32 v8, v15, v7
	v_fmac_f32_e32 v8, v14, v6
	v_mul_f32_e32 v6, v15, v6
	v_fma_f32 v6, v14, v7, -v6
	v_cvt_f64_f32_e32 v[8:9], v8
	v_cvt_f64_f32_e32 v[6:7], v6
	v_mul_f64 v[8:9], v[8:9], s[2:3]
	v_mul_f64 v[6:7], v[6:7], s[2:3]
	v_cvt_f32_f64_e32 v8, v[8:9]
	v_cvt_f32_f64_e32 v9, v[6:7]
	v_add_co_u32_e32 v6, vcc, s7, v10
	v_mov_b32_e32 v7, s6
	v_addc_co_u32_e32 v7, vcc, v11, v7, vcc
	global_store_dwordx2 v[6:7], v[8:9], off
	buffer_load_dword v9, off, s[24:27], 0 offset:192 ; 4-byte Folded Reload
	s_nop 0
	buffer_load_dword v10, off, s[24:27], 0 offset:196 ; 4-byte Folded Reload
	s_waitcnt vmcnt(0) lgkmcnt(0)
	v_mul_f32_e32 v8, v10, v23
	v_fmac_f32_e32 v8, v9, v22
	v_mov_b32_e32 v11, v10
	v_mov_b32_e32 v10, v9
	v_cvt_f64_f32_e32 v[8:9], v8
	v_mul_f64 v[8:9], v[8:9], s[2:3]
	v_cvt_f32_f64_e32 v8, v[8:9]
	v_mul_f32_e32 v9, v11, v22
	v_fma_f32 v9, v10, v23, -v9
	v_cvt_f64_f32_e32 v[9:10], v9
	v_mul_f64 v[9:10], v[9:10], s[2:3]
	v_cvt_f32_f64_e32 v9, v[9:10]
	v_add_co_u32_e32 v10, vcc, s5, v6
	v_mov_b32_e32 v6, s4
	v_addc_co_u32_e32 v11, vcc, v7, v6, vcc
	global_store_dwordx2 v[10:11], v[8:9], off
	ds_read2_b64 v[6:9], v153 offset0:128 offset1:224
	buffer_load_dword v18, off, s[24:27], 0 offset:176 ; 4-byte Folded Reload
	buffer_load_dword v19, off, s[24:27], 0 offset:180 ; 4-byte Folded Reload
	ds_read2_b64 v[26:29], v181 offset1:96
	s_waitcnt vmcnt(0) lgkmcnt(1)
	v_mul_f32_e32 v14, v19, v9
	v_fmac_f32_e32 v14, v18, v8
	v_mul_f32_e32 v8, v19, v8
	v_fma_f32 v8, v18, v9, -v8
	v_cvt_f64_f32_e32 v[14:15], v14
	v_cvt_f64_f32_e32 v[8:9], v8
	v_add_co_u32_e32 v18, vcc, s5, v10
	v_mul_f64 v[14:15], v[14:15], s[2:3]
	v_mul_f64 v[8:9], v[8:9], s[2:3]
	v_cvt_f32_f64_e32 v14, v[14:15]
	v_cvt_f32_f64_e32 v15, v[8:9]
	v_mov_b32_e32 v8, s4
	v_addc_co_u32_e32 v19, vcc, v11, v8, vcc
	global_store_dwordx2 v[18:19], v[14:15], off
	buffer_load_dword v9, off, s[24:27], 0 offset:184 ; 4-byte Folded Reload
	buffer_load_dword v10, off, s[24:27], 0 offset:188 ; 4-byte Folded Reload
	s_waitcnt vmcnt(0) lgkmcnt(0)
	v_mul_f32_e32 v8, v10, v27
	buffer_load_dword v14, off, s[24:27], 0 offset:172 ; 4-byte Folded Reload
	v_fmac_f32_e32 v8, v9, v26
	v_mov_b32_e32 v11, v10
	v_mov_b32_e32 v10, v9
	v_cvt_f64_f32_e32 v[8:9], v8
	v_mul_f64 v[8:9], v[8:9], s[2:3]
	v_cvt_f32_f64_e32 v8, v[8:9]
	v_mul_f32_e32 v9, v11, v26
	v_fma_f32 v9, v10, v27, -v9
	v_cvt_f64_f32_e32 v[9:10], v9
	v_mul_f64 v[9:10], v[9:10], s[2:3]
	v_cvt_f32_f64_e32 v9, v[9:10]
	s_waitcnt vmcnt(0)
	v_mad_u64_u32 v[10:11], s[8:9], s0, v14, 0
	v_mad_u64_u32 v[14:15], s[8:9], s1, v14, v[11:12]
	v_mov_b32_e32 v11, v14
	v_lshlrev_b64 v[10:11], 3, v[10:11]
	v_add_co_u32_e32 v10, vcc, v30, v10
	v_addc_co_u32_e32 v11, vcc, v31, v11, vcc
	global_store_dwordx2 v[10:11], v[8:9], off
	ds_read2_b64 v[8:11], v160 offset0:64 offset1:160
	buffer_load_dword v22, off, s[24:27], 0 offset:164 ; 4-byte Folded Reload
	buffer_load_dword v23, off, s[24:27], 0 offset:168 ; 4-byte Folded Reload
	s_waitcnt vmcnt(0) lgkmcnt(0)
	v_mul_f32_e32 v14, v23, v11
	v_fmac_f32_e32 v14, v22, v10
	v_mul_f32_e32 v10, v23, v10
	v_fma_f32 v10, v22, v11, -v10
	v_cvt_f64_f32_e32 v[14:15], v14
	v_cvt_f64_f32_e32 v[10:11], v10
	v_mul_f64 v[14:15], v[14:15], s[2:3]
	v_mul_f64 v[10:11], v[10:11], s[2:3]
	v_cvt_f32_f64_e32 v14, v[14:15]
	v_cvt_f32_f64_e32 v15, v[10:11]
	v_add_co_u32_e32 v10, vcc, s7, v18
	v_mov_b32_e32 v11, s6
	v_addc_co_u32_e32 v11, vcc, v19, v11, vcc
	global_store_dwordx2 v[10:11], v[14:15], off
	buffer_load_dword v18, off, s[24:27], 0 offset:148 ; 4-byte Folded Reload
	buffer_load_dword v19, off, s[24:27], 0 offset:152 ; 4-byte Folded Reload
	s_waitcnt vmcnt(0)
	v_mul_f32_e32 v14, v19, v13
	v_fmac_f32_e32 v14, v18, v12
	v_mul_f32_e32 v12, v19, v12
	v_fma_f32 v12, v18, v13, -v12
	v_cvt_f64_f32_e32 v[14:15], v14
	v_cvt_f64_f32_e32 v[12:13], v12
	v_mul_f64 v[14:15], v[14:15], s[2:3]
	v_mul_f64 v[12:13], v[12:13], s[2:3]
	v_cvt_f32_f64_e32 v14, v[14:15]
	v_cvt_f32_f64_e32 v15, v[12:13]
	v_mov_b32_e32 v12, 0xffffb200
	v_mad_u64_u32 v[18:19], s[8:9], s0, v12, v[10:11]
	s_mul_i32 s8, s1, 0xffffb200
	s_sub_i32 s8, s8, s0
	v_add_u32_e32 v19, s8, v19
	global_store_dwordx2 v[18:19], v[14:15], off
	ds_read2_b64 v[10:13], v155 offset0:128 offset1:224
	buffer_load_dword v22, off, s[24:27], 0 offset:156 ; 4-byte Folded Reload
	buffer_load_dword v23, off, s[24:27], 0 offset:160 ; 4-byte Folded Reload
	s_waitcnt vmcnt(0) lgkmcnt(0)
	v_mul_f32_e32 v14, v23, v11
	v_fmac_f32_e32 v14, v22, v10
	v_mul_f32_e32 v10, v23, v10
	v_fma_f32 v10, v22, v11, -v10
	buffer_load_dword v22, off, s[24:27], 0 offset:264 ; 4-byte Folded Reload
	v_cvt_f64_f32_e32 v[14:15], v14
	v_cvt_f64_f32_e32 v[10:11], v10
	v_mul_f64 v[14:15], v[14:15], s[2:3]
	v_mul_f64 v[10:11], v[10:11], s[2:3]
	v_cvt_f32_f64_e32 v14, v[14:15]
	v_cvt_f32_f64_e32 v15, v[10:11]
	s_waitcnt vmcnt(0)
	v_mad_u64_u32 v[10:11], s[8:9], s0, v22, 0
	v_mad_u64_u32 v[22:23], s[8:9], s1, v22, v[11:12]
	v_mov_b32_e32 v11, v22
	v_lshlrev_b64 v[10:11], 3, v[10:11]
	v_add_co_u32_e32 v10, vcc, v30, v10
	v_addc_co_u32_e32 v11, vcc, v31, v11, vcc
	global_store_dwordx2 v[10:11], v[14:15], off
	buffer_load_dword v14, off, s[24:27], 0 offset:140 ; 4-byte Folded Reload
	s_nop 0
	buffer_load_dword v15, off, s[24:27], 0 offset:144 ; 4-byte Folded Reload
	v_add_co_u32_e32 v18, vcc, s7, v18
	s_waitcnt vmcnt(0)
	v_mul_f32_e32 v10, v15, v17
	v_fmac_f32_e32 v10, v14, v16
	v_cvt_f64_f32_e32 v[10:11], v10
	v_mul_f64 v[10:11], v[10:11], s[2:3]
	v_cvt_f32_f64_e32 v10, v[10:11]
	v_mul_f32_e32 v11, v15, v16
	v_fma_f32 v11, v14, v17, -v11
	v_cvt_f64_f32_e32 v[14:15], v11
	v_mul_f64 v[14:15], v[14:15], s[2:3]
	v_cvt_f32_f64_e32 v11, v[14:15]
	v_mov_b32_e32 v14, s6
	v_addc_co_u32_e32 v19, vcc, v19, v14, vcc
	global_store_dwordx2 v[18:19], v[10:11], off
	ds_read2_b64 v[14:17], v202 offset0:64 offset1:160
	buffer_load_dword v22, off, s[24:27], 0 offset:124 ; 4-byte Folded Reload
	buffer_load_dword v23, off, s[24:27], 0 offset:128 ; 4-byte Folded Reload
	s_waitcnt vmcnt(0) lgkmcnt(0)
	v_mul_f32_e32 v10, v23, v15
	v_fmac_f32_e32 v10, v22, v14
	v_cvt_f64_f32_e32 v[10:11], v10
	v_mul_f64 v[10:11], v[10:11], s[2:3]
	v_cvt_f32_f64_e32 v10, v[10:11]
	v_mul_f32_e32 v11, v23, v14
	v_fma_f32 v11, v22, v15, -v11
	v_cvt_f64_f32_e32 v[14:15], v11
	v_mul_f64 v[14:15], v[14:15], s[2:3]
	v_cvt_f32_f64_e32 v11, v[14:15]
	v_add_co_u32_e32 v14, vcc, s5, v18
	v_mov_b32_e32 v15, s4
	v_addc_co_u32_e32 v15, vcc, v19, v15, vcc
	global_store_dwordx2 v[14:15], v[10:11], off
	buffer_load_dword v18, off, s[24:27], 0 offset:112 ; 4-byte Folded Reload
	buffer_load_dword v19, off, s[24:27], 0 offset:116 ; 4-byte Folded Reload
	v_add_co_u32_e32 v14, vcc, s5, v14
	s_waitcnt vmcnt(0)
	v_mul_f32_e32 v10, v19, v21
	v_fmac_f32_e32 v10, v18, v20
	v_cvt_f64_f32_e32 v[10:11], v10
	v_mul_f64 v[10:11], v[10:11], s[2:3]
	v_cvt_f32_f64_e32 v10, v[10:11]
	v_mul_f32_e32 v11, v19, v20
	v_fma_f32 v11, v18, v21, -v11
	v_cvt_f64_f32_e32 v[18:19], v11
	v_mul_f64 v[18:19], v[18:19], s[2:3]
	v_cvt_f32_f64_e32 v11, v[18:19]
	v_mov_b32_e32 v18, s4
	v_addc_co_u32_e32 v15, vcc, v15, v18, vcc
	global_store_dwordx2 v[14:15], v[10:11], off
	ds_read2_b64 v[18:21], v203 offset1:96
	buffer_load_dword v22, off, s[24:27], 0 offset:132 ; 4-byte Folded Reload
	buffer_load_dword v23, off, s[24:27], 0 offset:136 ; 4-byte Folded Reload
	s_waitcnt vmcnt(0) lgkmcnt(0)
	v_mul_f32_e32 v10, v23, v19
	v_fmac_f32_e32 v10, v22, v18
	v_cvt_f64_f32_e32 v[10:11], v10
	v_mul_f64 v[10:11], v[10:11], s[2:3]
	v_cvt_f32_f64_e32 v10, v[10:11]
	v_mul_f32_e32 v11, v23, v18
	v_fma_f32 v11, v22, v19, -v11
	buffer_load_dword v22, off, s[24:27], 0 offset:120 ; 4-byte Folded Reload
	v_cvt_f64_f32_e32 v[18:19], v11
	v_mul_f64 v[18:19], v[18:19], s[2:3]
	v_cvt_f32_f64_e32 v11, v[18:19]
	s_waitcnt vmcnt(0)
	v_mad_u64_u32 v[18:19], s[8:9], s0, v22, 0
	v_mad_u64_u32 v[22:23], s[8:9], s1, v22, v[19:20]
	v_mov_b32_e32 v19, v22
	v_lshlrev_b64 v[18:19], 3, v[18:19]
	v_add_co_u32_e32 v18, vcc, v30, v18
	v_addc_co_u32_e32 v19, vcc, v31, v19, vcc
	global_store_dwordx2 v[18:19], v[10:11], off
	buffer_load_dword v18, off, s[24:27], 0 offset:88 ; 4-byte Folded Reload
	s_nop 0
	buffer_load_dword v19, off, s[24:27], 0 offset:92 ; 4-byte Folded Reload
	v_add_co_u32_e32 v14, vcc, s7, v14
	s_waitcnt vmcnt(0)
	v_mul_f32_e32 v10, v19, v25
	v_fmac_f32_e32 v10, v18, v24
	v_cvt_f64_f32_e32 v[10:11], v10
	v_mul_f64 v[10:11], v[10:11], s[2:3]
	v_cvt_f32_f64_e32 v10, v[10:11]
	v_mul_f32_e32 v11, v19, v24
	v_fma_f32 v11, v18, v25, -v11
	v_cvt_f64_f32_e32 v[18:19], v11
	ds_read2_b64 v[22:25], v152 offset0:64 offset1:160
	v_mul_f64 v[18:19], v[18:19], s[2:3]
	v_cvt_f32_f64_e32 v11, v[18:19]
	v_mov_b32_e32 v18, s6
	v_addc_co_u32_e32 v15, vcc, v15, v18, vcc
	global_store_dwordx2 v[14:15], v[10:11], off
	buffer_load_dword v18, off, s[24:27], 0 offset:56 ; 4-byte Folded Reload
	buffer_load_dword v19, off, s[24:27], 0 offset:60 ; 4-byte Folded Reload
	v_add_co_u32_e32 v14, vcc, s5, v14
	s_waitcnt vmcnt(0) lgkmcnt(0)
	v_mul_f32_e32 v10, v19, v23
	v_fmac_f32_e32 v10, v18, v22
	v_cvt_f64_f32_e32 v[10:11], v10
	v_mul_f64 v[10:11], v[10:11], s[2:3]
	v_cvt_f32_f64_e32 v10, v[10:11]
	v_mul_f32_e32 v11, v19, v22
	v_fma_f32 v11, v18, v23, -v11
	v_cvt_f64_f32_e32 v[18:19], v11
	v_mul_f64 v[18:19], v[18:19], s[2:3]
	v_cvt_f32_f64_e32 v11, v[18:19]
	v_mov_b32_e32 v18, s4
	v_addc_co_u32_e32 v15, vcc, v15, v18, vcc
	global_store_dwordx2 v[14:15], v[10:11], off
	buffer_load_dword v18, off, s[24:27], 0 offset:28 ; 4-byte Folded Reload
	buffer_load_dword v19, off, s[24:27], 0 offset:32 ; 4-byte Folded Reload
	v_add_co_u32_e32 v14, vcc, s5, v14
	s_waitcnt vmcnt(0)
	v_mul_f32_e32 v10, v19, v29
	v_fmac_f32_e32 v10, v18, v28
	v_cvt_f64_f32_e32 v[10:11], v10
	v_mul_f64 v[10:11], v[10:11], s[2:3]
	v_cvt_f32_f64_e32 v10, v[10:11]
	v_mul_f32_e32 v11, v19, v28
	v_fma_f32 v11, v18, v29, -v11
	v_cvt_f64_f32_e32 v[18:19], v11
	ds_read2_b64 v[26:29], v150 offset0:128 offset1:224
	v_mul_f64 v[18:19], v[18:19], s[2:3]
	v_cvt_f32_f64_e32 v11, v[18:19]
	v_mov_b32_e32 v18, s4
	v_addc_co_u32_e32 v15, vcc, v15, v18, vcc
	global_store_dwordx2 v[14:15], v[10:11], off
	buffer_load_dword v18, off, s[24:27], 0 offset:4 ; 4-byte Folded Reload
	buffer_load_dword v19, off, s[24:27], 0 offset:8 ; 4-byte Folded Reload
	buffer_load_dword v22, off, s[24:27], 0 ; 4-byte Folded Reload
	s_waitcnt vmcnt(1) lgkmcnt(0)
	v_mul_f32_e32 v10, v19, v27
	v_fmac_f32_e32 v10, v18, v26
	v_cvt_f64_f32_e32 v[10:11], v10
	v_mul_f64 v[10:11], v[10:11], s[2:3]
	v_cvt_f32_f64_e32 v10, v[10:11]
	v_mul_f32_e32 v11, v19, v26
	v_fma_f32 v11, v18, v27, -v11
	v_cvt_f64_f32_e32 v[18:19], v11
	v_mul_f64 v[18:19], v[18:19], s[2:3]
	v_cvt_f32_f64_e32 v11, v[18:19]
	s_waitcnt vmcnt(0)
	v_mad_u64_u32 v[18:19], s[8:9], s0, v22, 0
	v_mad_u64_u32 v[22:23], s[8:9], s1, v22, v[19:20]
	v_mov_b32_e32 v19, v22
	v_lshlrev_b64 v[18:19], 3, v[18:19]
	v_add_co_u32_e32 v18, vcc, v30, v18
	v_addc_co_u32_e32 v19, vcc, v31, v19, vcc
	global_store_dwordx2 v[18:19], v[10:11], off
	buffer_load_dword v18, off, s[24:27], 0 offset:104 ; 4-byte Folded Reload
	s_nop 0
	buffer_load_dword v19, off, s[24:27], 0 offset:108 ; 4-byte Folded Reload
	s_waitcnt vmcnt(0)
	v_mul_f32_e32 v10, v19, v1
	v_fmac_f32_e32 v10, v18, v0
	v_mul_f32_e32 v0, v19, v0
	v_fma_f32 v0, v18, v1, -v0
	v_cvt_f64_f32_e32 v[10:11], v10
	v_cvt_f64_f32_e32 v[0:1], v0
	v_mul_f64 v[10:11], v[10:11], s[2:3]
	v_mul_f64 v[0:1], v[0:1], s[2:3]
	v_cvt_f32_f64_e32 v10, v[10:11]
	v_cvt_f32_f64_e32 v11, v[0:1]
	v_mov_b32_e32 v0, 0xffffbb00
	v_mad_u64_u32 v[0:1], s[8:9], s0, v0, v[14:15]
	s_mul_i32 s8, s1, 0xffffbb00
	s_sub_i32 s8, s8, s0
	v_add_u32_e32 v1, s8, v1
	global_store_dwordx2 v[0:1], v[10:11], off
	buffer_load_dword v14, off, s[24:27], 0 offset:64 ; 4-byte Folded Reload
	buffer_load_dword v15, off, s[24:27], 0 offset:68 ; 4-byte Folded Reload
	v_add_co_u32_e32 v0, vcc, s5, v0
	s_waitcnt vmcnt(0)
	v_mul_f32_e32 v10, v15, v13
	v_fmac_f32_e32 v10, v14, v12
	v_cvt_f64_f32_e32 v[10:11], v10
	v_mul_f64 v[10:11], v[10:11], s[2:3]
	v_cvt_f32_f64_e32 v10, v[10:11]
	v_mul_f32_e32 v11, v15, v12
	v_fma_f32 v11, v14, v13, -v11
	v_cvt_f64_f32_e32 v[11:12], v11
	v_mul_f64 v[11:12], v[11:12], s[2:3]
	v_cvt_f32_f64_e32 v11, v[11:12]
	v_mov_b32_e32 v12, s4
	v_addc_co_u32_e32 v1, vcc, v1, v12, vcc
	global_store_dwordx2 v[0:1], v[10:11], off
	buffer_load_dword v11, off, s[24:27], 0 offset:48 ; 4-byte Folded Reload
	s_nop 0
	buffer_load_dword v12, off, s[24:27], 0 offset:52 ; 4-byte Folded Reload
	s_waitcnt vmcnt(0)
	v_mul_f32_e32 v10, v12, v3
	v_mov_b32_e32 v13, v12
	v_fmac_f32_e32 v10, v11, v2
	v_mov_b32_e32 v12, v11
	v_mul_f32_e32 v2, v13, v2
	v_fma_f32 v2, v12, v3, -v2
	buffer_load_dword v12, off, s[24:27], 0 offset:268 ; 4-byte Folded Reload
	v_cvt_f64_f32_e32 v[10:11], v10
	v_cvt_f64_f32_e32 v[2:3], v2
	v_mul_f64 v[10:11], v[10:11], s[2:3]
	v_mul_f64 v[2:3], v[2:3], s[2:3]
	v_cvt_f32_f64_e32 v10, v[10:11]
	v_cvt_f32_f64_e32 v11, v[2:3]
	s_waitcnt vmcnt(0)
	v_mad_u64_u32 v[2:3], s[8:9], s0, v12, 0
	v_mad_u64_u32 v[12:13], s[8:9], s1, v12, v[3:4]
	v_mov_b32_e32 v3, v12
	v_lshlrev_b64 v[2:3], 3, v[2:3]
	v_add_co_u32_e32 v2, vcc, v30, v2
	v_addc_co_u32_e32 v3, vcc, v31, v3, vcc
	global_store_dwordx2 v[2:3], v[10:11], off
	buffer_load_dword v10, off, s[24:27], 0 offset:20 ; 4-byte Folded Reload
	s_nop 0
	buffer_load_dword v11, off, s[24:27], 0 offset:24 ; 4-byte Folded Reload
	v_add_co_u32_e32 v0, vcc, s7, v0
	s_waitcnt vmcnt(0)
	v_mul_f32_e32 v2, v11, v17
	v_fmac_f32_e32 v2, v10, v16
	v_cvt_f64_f32_e32 v[2:3], v2
	v_mul_f64 v[2:3], v[2:3], s[2:3]
	v_cvt_f32_f64_e32 v2, v[2:3]
	v_mul_f32_e32 v3, v11, v16
	v_fma_f32 v3, v10, v17, -v3
	v_cvt_f64_f32_e32 v[10:11], v3
	v_mul_f64 v[10:11], v[10:11], s[2:3]
	v_cvt_f32_f64_e32 v3, v[10:11]
	v_mov_b32_e32 v10, s6
	v_addc_co_u32_e32 v1, vcc, v1, v10, vcc
	global_store_dwordx2 v[0:1], v[2:3], off
	buffer_load_dword v10, off, s[24:27], 0 offset:96 ; 4-byte Folded Reload
	buffer_load_dword v11, off, s[24:27], 0 offset:100 ; 4-byte Folded Reload
	v_add_co_u32_e32 v0, vcc, s5, v0
	s_waitcnt vmcnt(0)
	v_mul_f32_e32 v2, v11, v5
	v_fmac_f32_e32 v2, v10, v4
	v_cvt_f64_f32_e32 v[2:3], v2
	v_mul_f64 v[2:3], v[2:3], s[2:3]
	v_cvt_f32_f64_e32 v2, v[2:3]
	v_mul_f32_e32 v3, v11, v4
	v_fma_f32 v3, v10, v5, -v3
	v_cvt_f64_f32_e32 v[3:4], v3
	v_mul_f64 v[3:4], v[3:4], s[2:3]
	v_cvt_f32_f64_e32 v3, v[3:4]
	v_mov_b32_e32 v4, s4
	v_addc_co_u32_e32 v1, vcc, v1, v4, vcc
	global_store_dwordx2 v[0:1], v[2:3], off
	buffer_load_dword v3, off, s[24:27], 0 offset:72 ; 4-byte Folded Reload
	s_nop 0
	buffer_load_dword v4, off, s[24:27], 0 offset:76 ; 4-byte Folded Reload
	v_add_co_u32_e32 v0, vcc, s5, v0
	s_waitcnt vmcnt(0)
	v_mul_f32_e32 v2, v4, v21
	v_fmac_f32_e32 v2, v3, v20
	v_mov_b32_e32 v5, v4
	v_mov_b32_e32 v4, v3
	v_cvt_f64_f32_e32 v[2:3], v2
	v_mul_f64 v[2:3], v[2:3], s[2:3]
	v_cvt_f32_f64_e32 v2, v[2:3]
	v_mul_f32_e32 v3, v5, v20
	v_fma_f32 v3, v4, v21, -v3
	v_cvt_f64_f32_e32 v[3:4], v3
	v_mul_f64 v[3:4], v[3:4], s[2:3]
	v_cvt_f32_f64_e32 v3, v[3:4]
	v_mov_b32_e32 v4, s4
	v_addc_co_u32_e32 v1, vcc, v1, v4, vcc
	global_store_dwordx2 v[0:1], v[2:3], off
	buffer_load_dword v3, off, s[24:27], 0 offset:80 ; 4-byte Folded Reload
	s_nop 0
	buffer_load_dword v4, off, s[24:27], 0 offset:84 ; 4-byte Folded Reload
	s_waitcnt vmcnt(0)
	v_mul_f32_e32 v2, v4, v7
	v_fmac_f32_e32 v2, v3, v6
	v_mov_b32_e32 v5, v4
	v_mov_b32_e32 v4, v3
	v_cvt_f64_f32_e32 v[2:3], v2
	v_mul_f64 v[2:3], v[2:3], s[2:3]
	v_cvt_f32_f64_e32 v2, v[2:3]
	v_mul_f32_e32 v3, v5, v6
	buffer_load_dword v6, off, s[24:27], 0 offset:44 ; 4-byte Folded Reload
	v_fma_f32 v3, v4, v7, -v3
	v_cvt_f64_f32_e32 v[3:4], v3
	v_mul_f64 v[3:4], v[3:4], s[2:3]
	v_cvt_f32_f64_e32 v3, v[3:4]
	s_waitcnt vmcnt(0)
	v_mad_u64_u32 v[4:5], s[8:9], s0, v6, 0
	v_mad_u64_u32 v[5:6], s[0:1], s1, v6, v[5:6]
	v_lshlrev_b64 v[4:5], 3, v[4:5]
	v_add_co_u32_e32 v4, vcc, v30, v4
	v_addc_co_u32_e32 v5, vcc, v31, v5, vcc
	global_store_dwordx2 v[4:5], v[2:3], off
	buffer_load_dword v3, off, s[24:27], 0 offset:36 ; 4-byte Folded Reload
	s_nop 0
	buffer_load_dword v4, off, s[24:27], 0 offset:40 ; 4-byte Folded Reload
	v_add_co_u32_e32 v0, vcc, s7, v0
	s_waitcnt vmcnt(0)
	v_mul_f32_e32 v2, v4, v25
	v_fmac_f32_e32 v2, v3, v24
	v_mov_b32_e32 v5, v4
	v_mov_b32_e32 v4, v3
	v_cvt_f64_f32_e32 v[2:3], v2
	v_mul_f64 v[2:3], v[2:3], s[2:3]
	v_cvt_f32_f64_e32 v2, v[2:3]
	v_mul_f32_e32 v3, v5, v24
	v_fma_f32 v3, v4, v25, -v3
	v_cvt_f64_f32_e32 v[3:4], v3
	v_mul_f64 v[3:4], v[3:4], s[2:3]
	v_cvt_f32_f64_e32 v3, v[3:4]
	v_mov_b32_e32 v4, s6
	v_addc_co_u32_e32 v1, vcc, v1, v4, vcc
	global_store_dwordx2 v[0:1], v[2:3], off
	buffer_load_dword v3, off, s[24:27], 0 offset:12 ; 4-byte Folded Reload
	s_nop 0
	buffer_load_dword v4, off, s[24:27], 0 offset:16 ; 4-byte Folded Reload
	v_add_co_u32_e32 v0, vcc, s5, v0
	s_waitcnt vmcnt(0)
	v_mul_f32_e32 v2, v4, v9
	v_fmac_f32_e32 v2, v3, v8
	v_mov_b32_e32 v5, v4
	v_mov_b32_e32 v4, v3
	v_cvt_f64_f32_e32 v[2:3], v2
	v_mul_f64 v[2:3], v[2:3], s[2:3]
	v_cvt_f32_f64_e32 v2, v[2:3]
	v_mul_f32_e32 v3, v5, v8
	v_fma_f32 v3, v4, v9, -v3
	v_cvt_f64_f32_e32 v[3:4], v3
	v_mul_f64 v[3:4], v[3:4], s[2:3]
	v_cvt_f32_f64_e32 v3, v[3:4]
	v_mov_b32_e32 v4, s4
	;; [unrolled: 20-line block ×3, first 2 shown]
	v_addc_co_u32_e32 v1, vcc, v1, v4, vcc
	global_store_dwordx2 v[0:1], v[2:3], off
.LBB0_2:
	s_endpgm
	.section	.rodata,"a",@progbits
	.p2align	6, 0x0
	.amdhsa_kernel bluestein_single_back_len2880_dim1_sp_op_CI_CI
		.amdhsa_group_segment_fixed_size 23040
		.amdhsa_private_segment_fixed_size 512
		.amdhsa_kernarg_size 104
		.amdhsa_user_sgpr_count 6
		.amdhsa_user_sgpr_private_segment_buffer 1
		.amdhsa_user_sgpr_dispatch_ptr 0
		.amdhsa_user_sgpr_queue_ptr 0
		.amdhsa_user_sgpr_kernarg_segment_ptr 1
		.amdhsa_user_sgpr_dispatch_id 0
		.amdhsa_user_sgpr_flat_scratch_init 0
		.amdhsa_user_sgpr_private_segment_size 0
		.amdhsa_uses_dynamic_stack 0
		.amdhsa_system_sgpr_private_segment_wavefront_offset 1
		.amdhsa_system_sgpr_workgroup_id_x 1
		.amdhsa_system_sgpr_workgroup_id_y 0
		.amdhsa_system_sgpr_workgroup_id_z 0
		.amdhsa_system_sgpr_workgroup_info 0
		.amdhsa_system_vgpr_workitem_id 0
		.amdhsa_next_free_vgpr 256
		.amdhsa_next_free_sgpr 28
		.amdhsa_reserve_vcc 1
		.amdhsa_reserve_flat_scratch 0
		.amdhsa_float_round_mode_32 0
		.amdhsa_float_round_mode_16_64 0
		.amdhsa_float_denorm_mode_32 3
		.amdhsa_float_denorm_mode_16_64 3
		.amdhsa_dx10_clamp 1
		.amdhsa_ieee_mode 1
		.amdhsa_fp16_overflow 0
		.amdhsa_exception_fp_ieee_invalid_op 0
		.amdhsa_exception_fp_denorm_src 0
		.amdhsa_exception_fp_ieee_div_zero 0
		.amdhsa_exception_fp_ieee_overflow 0
		.amdhsa_exception_fp_ieee_underflow 0
		.amdhsa_exception_fp_ieee_inexact 0
		.amdhsa_exception_int_div_zero 0
	.end_amdhsa_kernel
	.text
.Lfunc_end0:
	.size	bluestein_single_back_len2880_dim1_sp_op_CI_CI, .Lfunc_end0-bluestein_single_back_len2880_dim1_sp_op_CI_CI
                                        ; -- End function
	.section	.AMDGPU.csdata,"",@progbits
; Kernel info:
; codeLenInByte = 31512
; NumSgprs: 32
; NumVgprs: 256
; ScratchSize: 512
; MemoryBound: 0
; FloatMode: 240
; IeeeMode: 1
; LDSByteSize: 23040 bytes/workgroup (compile time only)
; SGPRBlocks: 3
; VGPRBlocks: 63
; NumSGPRsForWavesPerEU: 32
; NumVGPRsForWavesPerEU: 256
; Occupancy: 1
; WaveLimiterHint : 1
; COMPUTE_PGM_RSRC2:SCRATCH_EN: 1
; COMPUTE_PGM_RSRC2:USER_SGPR: 6
; COMPUTE_PGM_RSRC2:TRAP_HANDLER: 0
; COMPUTE_PGM_RSRC2:TGID_X_EN: 1
; COMPUTE_PGM_RSRC2:TGID_Y_EN: 0
; COMPUTE_PGM_RSRC2:TGID_Z_EN: 0
; COMPUTE_PGM_RSRC2:TIDIG_COMP_CNT: 0
	.type	__hip_cuid_fc667bd3e3350112,@object ; @__hip_cuid_fc667bd3e3350112
	.section	.bss,"aw",@nobits
	.globl	__hip_cuid_fc667bd3e3350112
__hip_cuid_fc667bd3e3350112:
	.byte	0                               ; 0x0
	.size	__hip_cuid_fc667bd3e3350112, 1

	.ident	"AMD clang version 19.0.0git (https://github.com/RadeonOpenCompute/llvm-project roc-6.4.0 25133 c7fe45cf4b819c5991fe208aaa96edf142730f1d)"
	.section	".note.GNU-stack","",@progbits
	.addrsig
	.addrsig_sym __hip_cuid_fc667bd3e3350112
	.amdgpu_metadata
---
amdhsa.kernels:
  - .args:
      - .actual_access:  read_only
        .address_space:  global
        .offset:         0
        .size:           8
        .value_kind:     global_buffer
      - .actual_access:  read_only
        .address_space:  global
        .offset:         8
        .size:           8
        .value_kind:     global_buffer
      - .actual_access:  read_only
        .address_space:  global
        .offset:         16
        .size:           8
        .value_kind:     global_buffer
      - .actual_access:  read_only
        .address_space:  global
        .offset:         24
        .size:           8
        .value_kind:     global_buffer
      - .actual_access:  read_only
        .address_space:  global
        .offset:         32
        .size:           8
        .value_kind:     global_buffer
      - .offset:         40
        .size:           8
        .value_kind:     by_value
      - .address_space:  global
        .offset:         48
        .size:           8
        .value_kind:     global_buffer
      - .address_space:  global
        .offset:         56
        .size:           8
        .value_kind:     global_buffer
      - .address_space:  global
        .offset:         64
        .size:           8
        .value_kind:     global_buffer
      - .address_space:  global
        .offset:         72
        .size:           8
        .value_kind:     global_buffer
      - .offset:         80
        .size:           4
        .value_kind:     by_value
      - .address_space:  global
        .offset:         88
        .size:           8
        .value_kind:     global_buffer
      - .address_space:  global
        .offset:         96
        .size:           8
        .value_kind:     global_buffer
    .group_segment_fixed_size: 23040
    .kernarg_segment_align: 8
    .kernarg_segment_size: 104
    .language:       OpenCL C
    .language_version:
      - 2
      - 0
    .max_flat_workgroup_size: 96
    .name:           bluestein_single_back_len2880_dim1_sp_op_CI_CI
    .private_segment_fixed_size: 512
    .sgpr_count:     32
    .sgpr_spill_count: 0
    .symbol:         bluestein_single_back_len2880_dim1_sp_op_CI_CI.kd
    .uniform_work_group_size: 1
    .uses_dynamic_stack: false
    .vgpr_count:     256
    .vgpr_spill_count: 127
    .wavefront_size: 64
amdhsa.target:   amdgcn-amd-amdhsa--gfx906
amdhsa.version:
  - 1
  - 2
...

	.end_amdgpu_metadata
